;; amdgpu-corpus repo=ROCm/rocFFT kind=compiled arch=gfx950 opt=O3
	.text
	.amdgcn_target "amdgcn-amd-amdhsa--gfx950"
	.amdhsa_code_object_version 6
	.protected	bluestein_single_fwd_len1377_dim1_sp_op_CI_CI ; -- Begin function bluestein_single_fwd_len1377_dim1_sp_op_CI_CI
	.globl	bluestein_single_fwd_len1377_dim1_sp_op_CI_CI
	.p2align	8
	.type	bluestein_single_fwd_len1377_dim1_sp_op_CI_CI,@function
bluestein_single_fwd_len1377_dim1_sp_op_CI_CI: ; @bluestein_single_fwd_len1377_dim1_sp_op_CI_CI
; %bb.0:
	s_load_dwordx4 s[8:11], s[0:1], 0x28
	v_mul_u32_u24_e32 v1, 0x506, v0
	v_mov_b32_e32 v83, 0
	v_add_u32_sdwa v6, s2, v1 dst_sel:DWORD dst_unused:UNUSED_PAD src0_sel:DWORD src1_sel:WORD_1
	v_mov_b32_e32 v7, v83
	s_waitcnt lgkmcnt(0)
	v_cmp_gt_u64_e32 vcc, s[8:9], v[6:7]
	s_and_saveexec_b64 s[2:3], vcc
	s_cbranch_execz .LBB0_15
; %bb.1:
	s_load_dwordx4 s[4:7], s[0:1], 0x18
	s_load_dwordx2 s[12:13], s[0:1], 0x0
	v_mov_b32_e32 v2, s10
	v_mov_b32_e32 v3, s11
	;; [unrolled: 1-line block ×3, first 2 shown]
	s_waitcnt lgkmcnt(0)
	s_load_dwordx4 s[8:11], s[4:5], 0x0
	v_mul_lo_u16_sdwa v1, v1, v4 dst_sel:DWORD dst_unused:UNUSED_PAD src0_sel:WORD_1 src1_sel:DWORD
	v_sub_u16_e32 v82, v0, v1
	v_accvgpr_write_b32 a28, v6
	v_lshlrev_b32_e32 v168, 3, v82
	s_waitcnt lgkmcnt(0)
	v_mad_u64_u32 v[0:1], s[2:3], s10, v6, 0
	v_mov_b32_e32 v4, v1
	v_mad_u64_u32 v[4:5], s[2:3], s11, v6, v[4:5]
	v_mov_b32_e32 v1, v4
	v_mad_u64_u32 v[4:5], s[2:3], s8, v82, 0
	v_mov_b32_e32 v6, v5
	v_mad_u64_u32 v[6:7], s[2:3], s9, v82, v[6:7]
	s_mul_i32 s2, s9, 0x51
	s_mul_hi_u32 s3, s8, 0x51
	v_mov_b32_e32 v5, v6
	v_lshl_add_u64 v[0:1], v[0:1], 3, v[2:3]
	s_add_i32 s3, s3, s2
	s_mul_i32 s2, s8, 0x51
	v_lshl_add_u64 v[0:1], v[4:5], 3, v[0:1]
	s_lshl_b64 s[10:11], s[2:3], 3
	global_load_dwordx2 v[74:75], v168, s[12:13]
	global_load_dwordx2 v[6:7], v[0:1], off
	v_lshl_add_u64 v[0:1], v[0:1], 0, s[10:11]
	global_load_dwordx2 v[8:9], v[0:1], off
	global_load_dwordx2 v[72:73], v168, s[12:13] offset:648
	v_lshl_add_u64 v[0:1], v[0:1], 0, s[10:11]
	global_load_dwordx2 v[70:71], v168, s[12:13] offset:1296
	global_load_dwordx2 v[10:11], v[0:1], off
	v_lshl_add_u64 v[0:1], v[0:1], 0, s[10:11]
	global_load_dwordx2 v[12:13], v[0:1], off
	global_load_dwordx2 v[68:69], v168, s[12:13] offset:1944
	v_lshl_add_u64 v[0:1], v[0:1], 0, s[10:11]
	v_mov_b32_e32 v169, v83
	global_load_dwordx2 v[14:15], v[0:1], off
	global_load_dwordx2 v[64:65], v168, s[12:13] offset:2592
	v_lshl_add_u64 v[0:1], v[0:1], 0, s[10:11]
	v_lshl_add_u64 v[34:35], s[12:13], 0, v[168:169]
	global_load_dwordx2 v[16:17], v[0:1], off
	v_lshl_add_u64 v[0:1], v[0:1], 0, s[10:11]
	s_movk_i32 s2, 0x1000
	global_load_dwordx2 v[66:67], v168, s[12:13] offset:3240
	global_load_dwordx2 v[18:19], v[0:1], off
	global_load_dwordx2 v[60:61], v168, s[12:13] offset:3888
	v_lshl_add_u64 v[2:3], v[0:1], 0, s[10:11]
	v_add_co_u32_e32 v0, vcc, s2, v34
	global_load_dwordx2 v[20:21], v[2:3], off
	s_nop 0
	v_addc_co_u32_e32 v1, vcc, 0, v35, vcc
	global_load_dwordx2 v[62:63], v[0:1], off offset:440
	v_lshl_add_u64 v[2:3], v[2:3], 0, s[10:11]
	global_load_dwordx2 v[22:23], v[2:3], off
	global_load_dwordx2 v[58:59], v[0:1], off offset:1088
	v_lshl_add_u64 v[2:3], v[2:3], 0, s[10:11]
	global_load_dwordx2 v[24:25], v[2:3], off
	;; [unrolled: 3-line block ×4, first 2 shown]
	v_lshl_add_u64 v[2:3], v[2:3], 0, s[10:11]
	s_movk_i32 s2, 0x2000
	global_load_dwordx2 v[54:55], v[0:1], off offset:3032
	global_load_dwordx2 v[30:31], v[2:3], off
	global_load_dwordx2 v[48:49], v[0:1], off offset:3680
	v_lshl_add_u64 v[4:5], v[2:3], 0, s[10:11]
	v_add_co_u32_e32 v2, vcc, s2, v34
	v_accvgpr_write_b32 a182, v35           ;  Reload Reuse
	s_nop 0
	v_addc_co_u32_e32 v3, vcc, 0, v35, vcc
	global_load_dwordx2 v[32:33], v[4:5], off
	global_load_dwordx2 v[50:51], v[2:3], off offset:232
	v_lshl_add_u64 v[4:5], v[4:5], 0, s[10:11]
	v_accvgpr_write_b32 a184, v34           ;  Reload Reuse
	global_load_dwordx2 v[34:35], v[4:5], off
	global_load_dwordx2 v[46:47], v[2:3], off offset:880
	v_lshl_add_u64 v[4:5], v[4:5], 0, s[10:11]
	global_load_dwordx2 v[36:37], v[4:5], off
	global_load_dwordx2 v[44:45], v[2:3], off offset:1528
	v_lshl_add_u64 v[4:5], v[4:5], 0, s[10:11]
	global_load_dwordx2 v[42:43], v[2:3], off offset:2176
	global_load_dwordx2 v[38:39], v[4:5], off
	s_load_dwordx2 s[2:3], s[0:1], 0x38
	v_cmp_gt_u16_e32 vcc, 30, v82
	s_load_dwordx4 s[4:7], s[6:7], 0x0
	s_waitcnt vmcnt(33)
	v_accvgpr_write_b32 a38, v74
	s_waitcnt vmcnt(32)
	v_mul_f32_e32 v40, v7, v75
	v_mul_f32_e32 v41, v6, v75
	v_fmac_f32_e32 v40, v6, v74
	v_fma_f32 v41, v7, v74, -v41
	s_waitcnt vmcnt(30)
	v_mul_f32_e32 v6, v9, v73
	v_mul_f32_e32 v7, v8, v73
	v_fmac_f32_e32 v6, v8, v72
	v_fma_f32 v7, v9, v72, -v7
	ds_write2_b64 v168, v[40:41], v[6:7] offset1:81
	s_waitcnt vmcnt(28)
	v_mul_f32_e32 v6, v11, v71
	v_mul_f32_e32 v7, v10, v71
	s_waitcnt vmcnt(26)
	v_mul_f32_e32 v8, v13, v69
	v_mul_f32_e32 v9, v12, v69
	v_fmac_f32_e32 v6, v10, v70
	v_fma_f32 v7, v11, v70, -v7
	v_fmac_f32_e32 v8, v12, v68
	v_fma_f32 v9, v13, v68, -v9
	ds_write2_b64 v168, v[6:7], v[8:9] offset0:162 offset1:243
	s_waitcnt vmcnt(24)
	v_mul_f32_e32 v6, v14, v65
	v_mul_f32_e32 v8, v15, v65
	v_fma_f32 v9, v15, v64, -v6
	s_waitcnt vmcnt(22)
	v_mul_f32_e32 v10, v17, v67
	v_mul_f32_e32 v6, v16, v67
	v_fmac_f32_e32 v8, v14, v64
	v_fmac_f32_e32 v10, v16, v66
	v_fma_f32 v11, v17, v66, -v6
	v_add_u32_e32 v6, 0x800, v168
	s_waitcnt vmcnt(20)
	v_mul_f32_e32 v7, v18, v61
	ds_write2_b64 v6, v[8:9], v[10:11] offset0:68 offset1:149
	v_mul_f32_e32 v8, v19, v61
	v_fma_f32 v9, v19, v60, -v7
	s_waitcnt vmcnt(18)
	v_mul_f32_e32 v10, v21, v63
	v_mul_f32_e32 v7, v20, v63
	v_fmac_f32_e32 v8, v18, v60
	v_fmac_f32_e32 v10, v20, v62
	v_fma_f32 v11, v21, v62, -v7
	v_add_u32_e32 v7, 0xc00, v168
	ds_write2_b64 v7, v[8:9], v[10:11] offset0:102 offset1:183
	s_waitcnt vmcnt(16)
	v_mul_f32_e32 v8, v22, v59
	v_mul_f32_e32 v10, v23, v59
	v_fma_f32 v11, v23, v58, -v8
	s_waitcnt vmcnt(14)
	v_mul_f32_e32 v12, v25, v57
	v_mul_f32_e32 v8, v24, v57
	v_fmac_f32_e32 v10, v22, v58
	v_fmac_f32_e32 v12, v24, v56
	v_fma_f32 v13, v25, v56, -v8
	v_add_u32_e32 v8, 0x1000, v168
	s_waitcnt vmcnt(12)
	v_mul_f32_e32 v9, v26, v53
	ds_write2_b64 v8, v[10:11], v[12:13] offset0:136 offset1:217
	v_mul_f32_e32 v10, v27, v53
	v_fma_f32 v11, v27, v52, -v9
	s_waitcnt vmcnt(10)
	v_mul_f32_e32 v12, v29, v55
	v_mul_f32_e32 v9, v28, v55
	v_fmac_f32_e32 v10, v26, v52
	v_fmac_f32_e32 v12, v28, v54
	v_fma_f32 v13, v29, v54, -v9
	v_add_u32_e32 v9, 0x1800, v168
	ds_write2_b64 v9, v[10:11], v[12:13] offset0:42 offset1:123
	s_waitcnt vmcnt(8)
	v_mul_f32_e32 v10, v30, v49
	v_mul_f32_e32 v12, v31, v49
	v_fma_f32 v13, v31, v48, -v10
	s_waitcnt vmcnt(6)
	v_mul_f32_e32 v14, v33, v51
	v_mul_f32_e32 v10, v32, v51
	v_fmac_f32_e32 v12, v30, v48
	v_fmac_f32_e32 v14, v32, v50
	v_fma_f32 v15, v33, v50, -v10
	v_add_u32_e32 v10, 0x1c00, v168
	ds_write2_b64 v10, v[12:13], v[14:15] offset0:76 offset1:157
	s_waitcnt vmcnt(4)
	v_mul_f32_e32 v12, v35, v47
	v_mul_f32_e32 v11, v34, v47
	v_fmac_f32_e32 v12, v34, v46
	v_accvgpr_write_b32 a186, v47           ;  Reload Reuse
	v_fma_f32 v13, v35, v46, -v11
	s_waitcnt vmcnt(2)
	v_mul_f32_e32 v14, v37, v45
	v_mul_f32_e32 v11, v36, v45
	v_fmac_f32_e32 v14, v36, v44
	v_accvgpr_write_b32 a192, v45           ;  Reload Reuse
	v_fma_f32 v15, v37, v44, -v11
	v_add_u32_e32 v11, 0x2000, v168
	v_accvgpr_write_b32 a36, v72
	v_accvgpr_write_b32 a34, v70
	;; [unrolled: 1-line block ×13, first 2 shown]
	ds_write2_b64 v11, v[12:13], v[14:15] offset0:110 offset1:191
	s_waitcnt vmcnt(0)
	v_mul_f32_e32 v12, v39, v43
	v_mul_f32_e32 v13, v38, v43
	v_accvgpr_write_b32 a39, v75
	v_accvgpr_write_b32 a37, v73
	;; [unrolled: 1-line block ×14, first 2 shown]
	v_accvgpr_write_b32 a188, v46           ;  Reload Reuse
	v_accvgpr_write_b32 a196, v44           ;  Reload Reuse
	v_fmac_f32_e32 v12, v38, v42
	v_accvgpr_write_b32 a198, v43           ;  Reload Reuse
	v_accvgpr_write_b32 a200, v42           ;  Reload Reuse
	v_fma_f32 v13, v39, v42, -v13
	ds_write_b64 v168, v[12:13] offset:10368
	s_and_saveexec_b64 s[14:15], vcc
	s_cbranch_execz .LBB0_3
; %bb.2:
	v_mov_b32_e32 v12, 0xffffd918
	s_mulk_i32 s9, 0xd918
	v_mad_u64_u32 v[4:5], s[16:17], s8, v12, v[4:5]
	s_sub_i32 s8, s9, s8
	v_accvgpr_read_b32 v35, a182            ;  Reload Reuse
	v_add_u32_e32 v5, s8, v5
	v_accvgpr_read_b32 v34, a184            ;  Reload Reuse
	global_load_dwordx2 v[12:13], v[4:5], off
	global_load_dwordx2 v[14:15], v[34:35], off offset:408
	v_lshl_add_u64 v[4:5], v[4:5], 0, s[10:11]
	global_load_dwordx2 v[16:17], v[4:5], off
	global_load_dwordx2 v[18:19], v[34:35], off offset:1056
	v_lshl_add_u64 v[4:5], v[4:5], 0, s[10:11]
	global_load_dwordx2 v[20:21], v[4:5], off
	global_load_dwordx2 v[22:23], v[34:35], off offset:1704
	global_load_dwordx2 v[24:25], v[34:35], off offset:2352
	v_lshl_add_u64 v[4:5], v[4:5], 0, s[10:11]
	global_load_dwordx2 v[26:27], v[4:5], off
	v_lshl_add_u64 v[4:5], v[4:5], 0, s[10:11]
	global_load_dwordx2 v[28:29], v[4:5], off
	global_load_dwordx2 v[30:31], v[34:35], off offset:3000
	v_lshl_add_u64 v[4:5], v[4:5], 0, s[10:11]
	global_load_dwordx2 v[32:33], v[4:5], off
	s_nop 0
	global_load_dwordx2 v[34:35], v[34:35], off offset:3648
	v_lshl_add_u64 v[4:5], v[4:5], 0, s[10:11]
	global_load_dwordx2 v[36:37], v[4:5], off
	global_load_dwordx2 v[38:39], v[0:1], off offset:200
	global_load_dwordx2 v[40:41], v[0:1], off offset:848
	v_lshl_add_u64 v[4:5], v[4:5], 0, s[10:11]
	global_load_dwordx2 v[42:43], v[4:5], off
	v_lshl_add_u64 v[4:5], v[4:5], 0, s[10:11]
	global_load_dwordx2 v[44:45], v[4:5], off
	global_load_dwordx2 v[46:47], v[0:1], off offset:1496
	v_lshl_add_u64 v[4:5], v[4:5], 0, s[10:11]
	global_load_dwordx2 v[48:49], v[4:5], off
	global_load_dwordx2 v[50:51], v[0:1], off offset:2144
	;; [unrolled: 3-line block ×3, first 2 shown]
	global_load_dwordx2 v[56:57], v[0:1], off offset:3440
	v_lshl_add_u64 v[4:5], v[4:5], 0, s[10:11]
	global_load_dwordx2 v[58:59], v[4:5], off
	v_lshl_add_u64 v[4:5], v[4:5], 0, s[10:11]
	global_load_dwordx2 v[60:61], v[4:5], off
	global_load_dwordx2 v[62:63], v[0:1], off offset:4088
	v_lshl_add_u64 v[0:1], v[4:5], 0, s[10:11]
	global_load_dwordx2 v[4:5], v[0:1], off
	global_load_dwordx2 v[64:65], v[2:3], off offset:640
	;; [unrolled: 3-line block ×3, first 2 shown]
	global_load_dwordx2 v[70:71], v[2:3], off offset:1936
	v_lshl_add_u64 v[0:1], v[0:1], 0, s[10:11]
	global_load_dwordx2 v[72:73], v[0:1], off
	global_load_dwordx2 v[74:75], v[2:3], off offset:2584
	v_lshl_add_u64 v[0:1], v[0:1], 0, s[10:11]
	global_load_dwordx2 v[0:1], v[0:1], off
	v_add_u32_e32 v76, 0x400, v168
	s_waitcnt vmcnt(32)
	v_mul_f32_e32 v2, v13, v15
	v_mul_f32_e32 v3, v12, v15
	v_fmac_f32_e32 v2, v12, v14
	v_fma_f32 v3, v13, v14, -v3
	s_waitcnt vmcnt(30)
	v_mul_f32_e32 v12, v17, v19
	v_mul_f32_e32 v13, v16, v19
	v_fmac_f32_e32 v12, v16, v18
	v_fma_f32 v13, v17, v18, -v13
	s_waitcnt vmcnt(28)
	v_mul_f32_e32 v14, v21, v23
	v_mul_f32_e32 v15, v20, v23
	ds_write2_b64 v168, v[2:3], v[12:13] offset0:51 offset1:132
	s_waitcnt vmcnt(26)
	v_mul_f32_e32 v2, v27, v25
	v_mul_f32_e32 v3, v26, v25
	v_fmac_f32_e32 v14, v20, v22
	v_fma_f32 v15, v21, v22, -v15
	v_fmac_f32_e32 v2, v26, v24
	v_fma_f32 v3, v27, v24, -v3
	s_waitcnt vmcnt(24)
	v_mul_f32_e32 v12, v29, v31
	v_mul_f32_e32 v13, v28, v31
	ds_write2_b64 v76, v[14:15], v[2:3] offset0:85 offset1:166
	s_waitcnt vmcnt(22)
	v_mul_f32_e32 v2, v33, v35
	v_mul_f32_e32 v3, v32, v35
	v_fmac_f32_e32 v12, v28, v30
	v_fma_f32 v13, v29, v30, -v13
	;; [unrolled: 11-line block ×3, first 2 shown]
	v_fmac_f32_e32 v2, v42, v40
	v_fma_f32 v3, v43, v40, -v3
	ds_write2_b64 v8, v[14:15], v[2:3] offset0:25 offset1:106
	s_waitcnt vmcnt(16)
	v_mul_f32_e32 v2, v45, v47
	v_mul_f32_e32 v3, v44, v47
	s_waitcnt vmcnt(14)
	v_mul_f32_e32 v12, v49, v51
	v_mul_f32_e32 v13, v48, v51
	v_fmac_f32_e32 v2, v44, v46
	v_fma_f32 v3, v45, v46, -v3
	v_fmac_f32_e32 v12, v48, v50
	v_fma_f32 v13, v49, v50, -v13
	v_add_u32_e32 v14, 0x1400, v168
	ds_write2_b64 v14, v[2:3], v[12:13] offset0:59 offset1:140
	s_waitcnt vmcnt(12)
	v_mul_f32_e32 v2, v53, v55
	v_mul_f32_e32 v3, v52, v55
	s_waitcnt vmcnt(10)
	v_mul_f32_e32 v12, v59, v57
	v_mul_f32_e32 v13, v58, v57
	v_fmac_f32_e32 v2, v52, v54
	v_fma_f32 v3, v53, v54, -v3
	v_fmac_f32_e32 v12, v58, v56
	v_fma_f32 v13, v59, v56, -v13
	ds_write2_b64 v9, v[2:3], v[12:13] offset0:93 offset1:174
	s_waitcnt vmcnt(6)
	v_mul_f32_e32 v12, v5, v65
	v_mul_f32_e32 v2, v61, v63
	;; [unrolled: 1-line block ×3, first 2 shown]
	v_fmac_f32_e32 v12, v4, v64
	v_mul_f32_e32 v4, v4, v65
	v_fmac_f32_e32 v2, v60, v62
	v_fma_f32 v3, v61, v62, -v3
	v_fma_f32 v13, v5, v64, -v4
	ds_write2_b64 v10, v[2:3], v[12:13] offset0:127 offset1:208
	s_waitcnt vmcnt(4)
	v_mul_f32_e32 v2, v67, v69
	v_mul_f32_e32 v3, v66, v69
	s_waitcnt vmcnt(2)
	v_mul_f32_e32 v4, v73, v71
	v_mul_f32_e32 v5, v72, v71
	v_fmac_f32_e32 v2, v66, v68
	v_fma_f32 v3, v67, v68, -v3
	v_fmac_f32_e32 v4, v72, v70
	v_fma_f32 v5, v73, v70, -v5
	ds_write2_b64 v11, v[2:3], v[4:5] offset0:161 offset1:242
	s_waitcnt vmcnt(0)
	v_mul_f32_e32 v2, v1, v75
	v_fmac_f32_e32 v2, v0, v74
	v_mul_f32_e32 v0, v0, v75
	v_fma_f32 v3, v1, v74, -v0
	ds_write_b64 v168, v[2:3] offset:10776
.LBB0_3:
	s_or_b64 exec, exec, s[14:15]
	s_waitcnt lgkmcnt(0)
	; wave barrier
	s_waitcnt lgkmcnt(0)
	ds_read2_b64 v[44:47], v168 offset1:81
	ds_read2_b64 v[52:55], v168 offset0:162 offset1:243
	ds_read2_b64 v[60:63], v6 offset0:68 offset1:149
	;; [unrolled: 1-line block ×7, first 2 shown]
	ds_read_b64 v[170:171], v168 offset:10368
	s_load_dwordx2 s[0:1], s[0:1], 0x8
	v_mov_b32_e32 v12, 0
	v_mov_b32_e32 v13, 0
                                        ; implicit-def: $vgpr10
                                        ; implicit-def: $vgpr20
                                        ; implicit-def: $vgpr18
                                        ; implicit-def: $vgpr28
                                        ; implicit-def: $vgpr26
                                        ; implicit-def: $vgpr0
                                        ; implicit-def: $vgpr6
                                        ; implicit-def: $vgpr34
	s_and_saveexec_b64 s[8:9], vcc
	s_cbranch_execz .LBB0_5
; %bb.4:
	v_add_u32_e32 v0, 0x400, v168
	ds_read2_b64 v[32:35], v0 offset0:85 offset1:166
	v_add_u32_e32 v0, 0x800, v168
	ds_read2_b64 v[24:27], v0 offset0:119 offset1:200
	;; [unrolled: 2-line block ×7, first 2 shown]
	ds_read2_b64 v[4:7], v0 offset0:161 offset1:242
	ds_read_b64 v[0:1], v168 offset:10776
.LBB0_5:
	s_or_b64 exec, exec, s[8:9]
	s_waitcnt lgkmcnt(0)
	v_accvgpr_write_b32 a75, v1
	s_mov_b32 s10, 0xbf2c7751
	v_pk_add_f32 v[90:91], v[0:1], v[14:15]
	v_accvgpr_write_b32 a74, v0
	v_pk_add_f32 v[0:1], v[14:15], v[0:1] neg_lo:[0,1] neg_hi:[0,1]
	s_mov_b32 s11, 0x3f3d2fb0
	v_mov_b32_e32 v77, v91
	v_mov_b32_e32 v91, v0
	s_mov_b32 s60, s11
	s_mov_b32 s61, s10
	;; [unrolled: 1-line block ×5, first 2 shown]
	v_mov_b32_e32 v76, v1
	v_pk_add_f32 v[2:3], v[6:7], v[32:33]
	v_pk_add_f32 v[38:39], v[32:33], v[6:7] neg_lo:[0,1] neg_hi:[0,1]
	v_pk_mul_f32 v[0:1], v[90:91], s[60:61]
	s_mov_b32 s9, 0x3dbcf732
	s_mov_b32 s15, 0x3ee437d1
	;; [unrolled: 1-line block ×3, first 2 shown]
	v_accvgpr_write_b32 a85, v1
	v_mov_b32_e32 v98, v2
	v_accvgpr_write_b32 a111, v3
	v_mov_b32_e32 v99, v38
	s_mov_b32 s58, s9
	s_mov_b32 s59, s8
	v_accvgpr_write_b32 a79, v7
	v_accvgpr_write_b32 a83, v35
	v_pk_add_f32 v[48:49], v[34:35], v[4:5] neg_lo:[0,1] neg_hi:[0,1]
	s_mov_b32 s62, s15
	s_mov_b32 s63, s14
	;; [unrolled: 1-line block ×5, first 2 shown]
	v_pk_fma_f32 v[36:37], v[76:77], s[10:11], v[0:1]
	v_accvgpr_write_b32 a84, v0
	v_pk_fma_f32 v[0:1], v[76:77], s[10:11], v[0:1] neg_lo:[0,0,1] neg_hi:[0,0,1]
	v_mov_b32_e32 v79, v3
	v_accvgpr_write_b32 a110, v2
	v_pk_mul_f32 v[2:3], v[98:99], s[58:59]
	v_pk_add_f32 v[92:93], v[4:5], v[34:35]
	v_accvgpr_write_b32 a78, v6
	v_accvgpr_write_b32 a77, v5
	;; [unrolled: 1-line block ×6, first 2 shown]
	v_pk_mul_f32 v[34:35], v[90:91], s[62:63]
	v_pk_mul_f32 v[4:5], v[98:99], s[52:53]
	s_mov_b32 s22, 0xbf7ba420
	v_pk_mul_f32 v[6:7], v[48:49], s[46:47] op_sel_hi:[1,0]
	v_mov_b32_e32 v78, v39
	v_accvgpr_write_b32 a123, v39
	v_accvgpr_write_b32 a87, v3
	;; [unrolled: 1-line block ×3, first 2 shown]
	v_pk_fma_f32 v[42:43], v[92:93], s[22:23], v[6:7] op_sel:[0,0,1] op_sel_hi:[1,0,0]
	v_pk_fma_f32 v[32:33], v[92:93], s[22:23], v[6:7] op_sel:[0,0,1] op_sel_hi:[1,0,0] neg_lo:[0,0,1] neg_hi:[0,0,1]
	v_accvgpr_write_b32 a29, v37
	v_mov_b32_e32 v0, v36
	v_pk_fma_f32 v[36:37], v[76:77], s[14:15], v[34:35]
	v_pk_fma_f32 v[6:7], v[76:77], s[14:15], v[34:35] neg_lo:[0,0,1] neg_hi:[0,0,1]
	v_accvgpr_write_b32 a122, v38
	v_pk_fma_f32 v[38:39], v[78:79], s[8:9], v[2:3]
	v_accvgpr_write_b32 a86, v2
	v_pk_fma_f32 v[2:3], v[78:79], s[8:9], v[2:3] neg_lo:[0,0,1] neg_hi:[0,0,1]
	v_pk_fma_f32 v[40:41], v[78:79], s[18:19], v[4:5]
	v_accvgpr_write_b32 a92, v4
	v_pk_fma_f32 v[4:5], v[78:79], s[18:19], v[4:5] neg_lo:[0,0,1] neg_hi:[0,0,1]
	v_mov_b32_e32 v6, v36
	v_pk_add_f32 v[0:1], v[0:1], v[12:13]
	v_pk_add_f32 v[6:7], v[6:7], v[12:13]
	v_mov_b32_e32 v2, v38
	v_mov_b32_e32 v4, v40
	s_mov_b32 s44, s19
	v_accvgpr_write_b32 a91, v35
	v_pk_add_f32 v[0:1], v[2:3], v[0:1]
	v_pk_add_f32 v[2:3], v[4:5], v[6:7]
	v_pk_mul_f32 v[4:5], v[48:49], s[18:19] op_sel_hi:[1,0]
	v_accvgpr_write_b32 a90, v34
	v_pk_fma_f32 v[6:7], v[92:93], s[44:45], v[4:5] op_sel:[0,0,1] op_sel_hi:[1,0,0]
	v_pk_fma_f32 v[34:35], v[92:93], s[44:45], v[4:5] op_sel:[0,0,1] op_sel_hi:[1,0,0] neg_lo:[0,0,1] neg_hi:[0,0,1]
	v_mov_b32_e32 v4, v6
	v_mov_b32_e32 v5, v35
	v_pk_add_f32 v[80:81], v[24:25], v[30:31] neg_lo:[0,1] neg_hi:[0,1]
	s_mov_b32 s16, 0xbe3c28d5
	s_mov_b32 s17, s22
	v_pk_add_f32 v[0:1], v[4:5], v[0:1]
	v_mov_b32_e32 v4, v42
	v_mov_b32_e32 v5, v33
	v_pk_add_f32 v[226:227], v[30:31], v[24:25]
	s_mov_b32 s23, s16
	v_pk_add_f32 v[2:3], v[4:5], v[2:3]
	v_pk_mul_f32 v[4:5], v[80:81], s[16:17] op_sel:[1,0] op_sel_hi:[0,0]
	s_mov_b32 s20, 0xbf763a35
	v_accvgpr_write_b32 a99, v7
	v_accvgpr_write_b32 a72, v32
	v_pk_fma_f32 v[6:7], v[226:227], s[22:23], v[4:5] op_sel_hi:[1,0,1]
	v_pk_fma_f32 v[32:33], v[226:227], s[22:23], v[4:5] op_sel_hi:[1,0,1] neg_lo:[0,0,1] neg_hi:[0,0,1]
	s_mov_b32 s21, 0xbe8c1d8e
	s_mov_b32 s28, 0x3f763a35
	v_mov_b32_e32 v4, v6
	v_mov_b32_e32 v5, v33
	v_pk_add_f32 v[0:1], v[4:5], v[0:1]
	v_pk_mul_f32 v[4:5], v[48:49], s[28:29] op_sel_hi:[1,0]
	s_mov_b32 s29, s21
	s_mov_b32 s38, s21
	v_accvgpr_write_b32 a105, v7
	v_pk_mul_f32 v[6:7], v[80:81], s[28:29] op_sel:[1,0] op_sel_hi:[0,0]
	v_accvgpr_write_b32 a88, v34
	v_accvgpr_write_b32 a96, v32
	v_pk_fma_f32 v[32:33], v[226:227], s[38:39], v[6:7] op_sel_hi:[1,0,1]
	v_pk_fma_f32 v[34:35], v[226:227], s[38:39], v[6:7] op_sel_hi:[1,0,1] neg_lo:[0,0,1] neg_hi:[0,0,1]
	s_mov_b32 s24, 0x3f06c442
	v_accvgpr_write_b32 a71, v31
	v_mov_b32_e32 v6, v32
	v_mov_b32_e32 v7, v35
	s_mov_b32 s25, 0xbf59a7d5
	v_pk_add_f32 v[116:117], v[28:29], v[26:27]
	v_accvgpr_write_b32 a70, v30
	v_accvgpr_write_b32 a69, v29
	;; [unrolled: 1-line block ×3, first 2 shown]
	v_pk_add_f32 v[28:29], v[26:27], v[28:29] neg_lo:[0,1] neg_hi:[0,1]
	v_pk_add_f32 v[2:3], v[6:7], v[2:3]
	s_mov_b32 s48, s25
	v_accvgpr_write_b32 a67, v27
	v_pk_mul_f32 v[6:7], v[28:29], s[24:25] op_sel:[1,0] op_sel_hi:[0,0]
	v_accvgpr_write_b32 a66, v26
	v_accvgpr_write_b32 a65, v25
	;; [unrolled: 1-line block ×3, first 2 shown]
	v_pk_fma_f32 v[24:25], v[116:117], s[48:49], v[6:7] op_sel_hi:[1,0,1]
	v_pk_fma_f32 v[26:27], v[116:117], s[48:49], v[6:7] op_sel_hi:[1,0,1] neg_lo:[0,0,1] neg_hi:[0,0,1]
	v_mov_b32_e32 v6, v24
	v_mov_b32_e32 v7, v27
	s_mov_b32 s26, 0x3f2c7751
	v_pk_add_f32 v[0:1], v[6:7], v[0:1]
	s_mov_b32 s50, s11
	v_pk_mul_f32 v[6:7], v[28:29], s[26:27] op_sel:[1,0] op_sel_hi:[0,0]
	v_accvgpr_write_b32 a109, v25
	v_accvgpr_write_b32 a100, v26
	v_pk_fma_f32 v[24:25], v[116:117], s[50:51], v[6:7] op_sel_hi:[1,0,1]
	v_pk_fma_f32 v[26:27], v[116:117], s[50:51], v[6:7] op_sel_hi:[1,0,1] neg_lo:[0,0,1] neg_hi:[0,0,1]
	v_mov_b32_e32 v6, v24
	v_mov_b32_e32 v7, v27
	v_pk_add_f32 v[30:31], v[16:17], v[22:23] neg_lo:[0,1] neg_hi:[0,1]
	v_pk_add_f32 v[2:3], v[6:7], v[2:3]
	v_pk_add_f32 v[120:121], v[22:23], v[16:17]
	v_pk_mul_f32 v[6:7], v[30:31], s[28:29] op_sel:[1,0] op_sel_hi:[0,0]
	v_accvgpr_write_b32 a107, v25
	v_accvgpr_write_b32 a98, v26
	v_pk_fma_f32 v[24:25], v[120:121], s[38:39], v[6:7] op_sel_hi:[1,0,1]
	v_pk_fma_f32 v[26:27], v[120:121], s[38:39], v[6:7] op_sel_hi:[1,0,1] neg_lo:[0,0,1] neg_hi:[0,0,1]
	s_mov_b32 s42, 0xbeb8f4ab
	v_mov_b32_e32 v6, v24
	v_mov_b32_e32 v7, v27
	s_mov_b32 s43, 0x3f6eb680
	v_pk_add_f32 v[0:1], v[6:7], v[0:1]
	s_mov_b32 s64, s43
	v_pk_mul_f32 v[6:7], v[30:31], s[42:43] op_sel:[1,0] op_sel_hi:[0,0]
	v_accvgpr_write_b32 a115, v25
	v_accvgpr_write_b32 a104, v26
	v_pk_fma_f32 v[24:25], v[120:121], s[64:65], v[6:7] op_sel_hi:[1,0,1]
	v_pk_fma_f32 v[26:27], v[120:121], s[64:65], v[6:7] op_sel_hi:[1,0,1] neg_lo:[0,0,1] neg_hi:[0,0,1]
	v_accvgpr_write_b32 a63, v23
	v_mov_b32_e32 v6, v24
	v_mov_b32_e32 v7, v27
	s_mov_b32 s30, 0x3f65296c
	s_mov_b32 s31, s15
	v_pk_add_f32 v[136:137], v[20:21], v[18:19]
	v_accvgpr_write_b32 a62, v22
	v_accvgpr_write_b32 a61, v21
	;; [unrolled: 1-line block ×3, first 2 shown]
	v_pk_add_f32 v[20:21], v[18:19], v[20:21] neg_lo:[0,1] neg_hi:[0,1]
	v_pk_add_f32 v[2:3], v[6:7], v[2:3]
	s_mov_b32 s54, s15
	v_accvgpr_write_b32 a59, v19
	v_pk_mul_f32 v[6:7], v[20:21], s[30:31] op_sel:[1,0] op_sel_hi:[0,0]
	v_accvgpr_write_b32 a58, v18
	v_accvgpr_write_b32 a57, v17
	;; [unrolled: 1-line block ×3, first 2 shown]
	v_pk_fma_f32 v[16:17], v[136:137], s[54:55], v[6:7] op_sel_hi:[1,0,1]
	v_pk_fma_f32 v[18:19], v[136:137], s[54:55], v[6:7] op_sel_hi:[1,0,1] neg_lo:[0,0,1] neg_hi:[0,0,1]
	v_mov_b32_e32 v6, v16
	v_mov_b32_e32 v7, v19
	v_pk_add_f32 v[0:1], v[6:7], v[0:1]
	s_mov_b32 s56, s9
	v_pk_mul_f32 v[6:7], v[20:21], s[8:9] op_sel:[1,0] op_sel_hi:[0,0]
	s_mov_b32 s34, 0x3eb8f4ab
	v_accvgpr_write_b32 a55, v11
	v_pk_add_f32 v[100:101], v[8:9], v[10:11] neg_lo:[0,1] neg_hi:[0,1]
	v_accvgpr_write_b32 a119, v17
	v_accvgpr_write_b32 a108, v18
	v_pk_fma_f32 v[16:17], v[136:137], s[56:57], v[6:7] op_sel_hi:[1,0,1]
	v_pk_fma_f32 v[18:19], v[136:137], s[56:57], v[6:7] op_sel_hi:[1,0,1] neg_lo:[0,0,1] neg_hi:[0,0,1]
	v_pk_add_f32 v[50:51], v[10:11], v[8:9]
	v_accvgpr_write_b32 a54, v10
	v_accvgpr_write_b32 a53, v9
	;; [unrolled: 1-line block ×3, first 2 shown]
	v_pk_mul_f32 v[8:9], v[100:101], s[34:35] op_sel:[1,0] op_sel_hi:[0,0]
	v_accvgpr_write_b32 a117, v17
	v_mov_b32_e32 v6, v16
	v_mov_b32_e32 v7, v19
	s_mov_b32 s36, 0xbf06c442
	v_pk_fma_f32 v[10:11], v[50:51], s[64:65], v[8:9] op_sel_hi:[1,0,1]
	v_pk_fma_f32 v[16:17], v[50:51], s[64:65], v[8:9] op_sel_hi:[1,0,1] neg_lo:[0,0,1] neg_hi:[0,0,1]
	v_pk_add_f32 v[2:3], v[6:7], v[2:3]
	v_pk_mul_f32 v[6:7], v[80:81], s[36:37] op_sel:[1,0] op_sel_hi:[0,0]
	s_mov_b32 s37, s25
	v_mov_b32_e32 v8, v10
	v_mov_b32_e32 v9, v17
	v_accvgpr_write_b32 a125, v11
	v_pk_add_f32 v[10:11], v[8:9], v[0:1]
	v_pk_mul_f32 v[0:1], v[100:101], s[36:37] op_sel:[1,0] op_sel_hi:[0,0]
	v_accvgpr_write_b32 a118, v16
	v_pk_fma_f32 v[8:9], v[50:51], s[48:49], v[0:1] op_sel_hi:[1,0,1]
	v_pk_fma_f32 v[16:17], v[50:51], s[48:49], v[0:1] op_sel_hi:[1,0,1] neg_lo:[0,0,1] neg_hi:[0,0,1]
	v_mov_b32_e32 v0, v8
	v_mov_b32_e32 v1, v17
	v_accvgpr_write_b32 a121, v9
	v_pk_add_f32 v[8:9], v[0:1], v[2:3]
	v_pk_mul_f32 v[0:1], v[90:91], s[58:59]
	v_accvgpr_write_b32 a43, v11
	v_accvgpr_write_b32 a163, v1
	v_pk_fma_f32 v[2:3], v[76:77], s[8:9], v[0:1]
	v_accvgpr_write_b32 a162, v0
	v_pk_fma_f32 v[0:1], v[76:77], s[8:9], v[0:1] neg_lo:[0,0,1] neg_hi:[0,0,1]
	v_accvgpr_write_b32 a145, v3
	v_mov_b32_e32 v0, v2
	v_pk_mul_f32 v[2:3], v[98:99], s[22:23]
	v_accvgpr_write_b32 a42, v10
	v_accvgpr_write_b32 a165, v3
	;; [unrolled: 1-line block ×4, first 2 shown]
	v_pk_fma_f32 v[8:9], v[78:79], s[16:17], v[2:3]
	v_accvgpr_write_b32 a164, v2
	v_pk_fma_f32 v[2:3], v[78:79], s[16:17], v[2:3] neg_lo:[0,0,1] neg_hi:[0,0,1]
	v_pk_add_f32 v[0:1], v[0:1], v[12:13]
	v_mov_b32_e32 v2, v8
	v_pk_add_f32 v[0:1], v[2:3], v[0:1]
	v_pk_fma_f32 v[2:3], v[92:93], s[38:39], v[4:5] op_sel:[0,0,1] op_sel_hi:[1,0,0]
	v_pk_fma_f32 v[4:5], v[92:93], s[38:39], v[4:5] op_sel:[0,0,1] op_sel_hi:[1,0,0] neg_lo:[0,0,1] neg_hi:[0,0,1]
	v_accvgpr_write_b32 a149, v3
	v_mov_b32_e32 v3, v5
	s_mov_b32 s70, s21
	s_mov_b32 s71, s20
	v_pk_add_f32 v[0:1], v[2:3], v[0:1]
	v_pk_mul_f32 v[2:3], v[90:91], s[70:71]
	v_accvgpr_write_b32 a114, v4
	v_accvgpr_write_b32 a175, v3
	s_mov_b32 s76, s25
	s_mov_b32 s77, s24
	v_pk_fma_f32 v[4:5], v[76:77], s[20:21], v[2:3]
	v_accvgpr_write_b32 a174, v2
	v_pk_fma_f32 v[2:3], v[76:77], s[20:21], v[2:3] neg_lo:[0,0,1] neg_hi:[0,0,1]
	v_accvgpr_write_b32 a157, v5
	v_mov_b32_e32 v2, v4
	v_pk_mul_f32 v[4:5], v[98:99], s[76:77]
	v_accvgpr_write_b32 a147, v9
	v_accvgpr_write_b32 a177, v5
	v_pk_fma_f32 v[8:9], v[78:79], s[24:25], v[4:5]
	v_accvgpr_write_b32 a176, v4
	v_pk_fma_f32 v[4:5], v[78:79], s[24:25], v[4:5] neg_lo:[0,0,1] neg_hi:[0,0,1]
	v_pk_add_f32 v[2:3], v[2:3], v[12:13]
	v_mov_b32_e32 v4, v8
	v_pk_add_f32 v[2:3], v[4:5], v[2:3]
	v_pk_mul_f32 v[4:5], v[48:49], s[26:27] op_sel_hi:[1,0]
	v_accvgpr_write_b32 a159, v9
	v_pk_fma_f32 v[10:11], v[92:93], s[50:51], v[4:5] op_sel:[0,0,1] op_sel_hi:[1,0,0]
	v_pk_fma_f32 v[8:9], v[92:93], s[50:51], v[4:5] op_sel:[0,0,1] op_sel_hi:[1,0,0] neg_lo:[0,0,1] neg_hi:[0,0,1]
	v_mov_b32_e32 v4, v10
	v_mov_b32_e32 v5, v9
	v_pk_add_f32 v[2:3], v[4:5], v[2:3]
	v_pk_mul_f32 v[4:5], v[80:81], s[34:35] op_sel:[1,0] op_sel_hi:[0,0]
	v_accvgpr_write_b32 a167, v11
	v_accvgpr_write_b32 a116, v8
	v_pk_fma_f32 v[10:11], v[226:227], s[64:65], v[4:5] op_sel_hi:[1,0,1]
	v_pk_fma_f32 v[8:9], v[226:227], s[64:65], v[4:5] op_sel_hi:[1,0,1] neg_lo:[0,0,1] neg_hi:[0,0,1]
	v_mov_b32_e32 v4, v10
	v_mov_b32_e32 v5, v9
	v_pk_add_f32 v[0:1], v[4:5], v[0:1]
	v_pk_mul_f32 v[4:5], v[80:81], s[14:15] op_sel:[1,0] op_sel_hi:[0,0]
	v_accvgpr_write_b32 a161, v11
	v_accvgpr_write_b32 a130, v8
	v_pk_fma_f32 v[10:11], v[226:227], s[54:55], v[4:5] op_sel_hi:[1,0,1]
	v_pk_fma_f32 v[8:9], v[226:227], s[54:55], v[4:5] op_sel_hi:[1,0,1] neg_lo:[0,0,1] neg_hi:[0,0,1]
	;; [unrolled: 8-line block ×5, first 2 shown]
	v_mov_b32_e32 v4, v8
	v_mov_b32_e32 v5, v11
	s_mov_b32 s40, 0x3f7ee86f
	v_pk_add_f32 v[0:1], v[4:5], v[0:1]
	v_pk_mul_f32 v[4:5], v[30:31], s[40:41] op_sel:[1,0] op_sel_hi:[0,0]
	v_accvgpr_write_b32 a135, v9
	v_accvgpr_write_b32 a136, v10
	v_pk_fma_f32 v[8:9], v[120:121], s[56:57], v[4:5] op_sel_hi:[1,0,1]
	v_pk_fma_f32 v[10:11], v[120:121], s[56:57], v[4:5] op_sel_hi:[1,0,1] neg_lo:[0,0,1] neg_hi:[0,0,1]
	v_mov_b32_e32 v4, v8
	v_mov_b32_e32 v5, v11
	s_mov_b32 s66, 0x3f4c4adb
	v_pk_add_f32 v[2:3], v[4:5], v[2:3]
	v_pk_mul_f32 v[4:5], v[20:21], s[66:67] op_sel:[1,0] op_sel_hi:[0,0]
	v_accvgpr_write_b32 a133, v9
	v_accvgpr_write_b32 a132, v10
	v_pk_fma_f32 v[8:9], v[136:137], s[44:45], v[4:5] op_sel_hi:[1,0,1]
	v_pk_fma_f32 v[10:11], v[136:137], s[44:45], v[4:5] op_sel_hi:[1,0,1] neg_lo:[0,0,1] neg_hi:[0,0,1]
	v_mov_b32_e32 v4, v8
	v_mov_b32_e32 v5, v11
	v_pk_add_f32 v[0:1], v[4:5], v[0:1]
	v_pk_mul_f32 v[4:5], v[20:21], s[42:43] op_sel:[1,0] op_sel_hi:[0,0]
	v_accvgpr_write_b32 a141, v9
	v_accvgpr_write_b32 a142, v10
	v_pk_fma_f32 v[8:9], v[136:137], s[64:65], v[4:5] op_sel_hi:[1,0,1]
	v_pk_fma_f32 v[10:11], v[136:137], s[64:65], v[4:5] op_sel_hi:[1,0,1] neg_lo:[0,0,1] neg_hi:[0,0,1]
	v_mov_b32_e32 v4, v8
	v_mov_b32_e32 v5, v11
	;; [unrolled: 8-line block ×4, first 2 shown]
	v_pk_add_f32 v[2:3], v[0:1], v[2:3]
	v_pk_mul_f32 v[0:1], v[90:91], s[52:53]
	v_accvgpr_write_b32 a47, v5
	v_accvgpr_write_b32 a179, v1
	;; [unrolled: 1-line block ×5, first 2 shown]
	s_mov_b32 s78, s21
	s_mov_b32 s79, s28
	v_pk_fma_f32 v[2:3], v[76:77], s[18:19], v[0:1]
	v_accvgpr_write_b32 a178, v0
	v_pk_fma_f32 v[0:1], v[76:77], s[18:19], v[0:1] neg_lo:[0,0,1] neg_hi:[0,0,1]
	v_accvgpr_write_b32 a173, v3
	v_mov_b32_e32 v0, v2
	v_pk_mul_f32 v[2:3], v[98:99], s[78:79]
	v_pk_add_f32 v[0:1], v[0:1], v[12:13]
	v_accvgpr_write_b32 a181, v3
	v_pk_fma_f32 v[4:5], v[78:79], s[28:29], v[2:3]
	v_accvgpr_write_b32 a180, v2
	v_pk_fma_f32 v[2:3], v[78:79], s[28:29], v[2:3] neg_lo:[0,0,1] neg_hi:[0,0,1]
	v_accvgpr_write_b32 a139, v9
	v_mov_b32_e32 v2, v4
	v_pk_add_f32 v[0:1], v[2:3], v[0:1]
	v_pk_mul_f32 v[2:3], v[48:49], s[42:43] op_sel_hi:[1,0]
	v_accvgpr_write_b32 a183, v5
	v_pk_fma_f32 v[8:9], v[92:93], s[64:65], v[2:3] op_sel:[0,0,1] op_sel_hi:[1,0,0]
	v_pk_fma_f32 v[4:5], v[92:93], s[64:65], v[2:3] op_sel:[0,0,1] op_sel_hi:[1,0,0] neg_lo:[0,0,1] neg_hi:[0,0,1]
	v_mov_b32_e32 v2, v8
	v_mov_b32_e32 v3, v5
	v_accvgpr_write_b32 a144, v4
	v_pk_add_f32 v[0:1], v[2:3], v[0:1]
	v_pk_fma_f32 v[2:3], v[226:227], s[48:49], v[6:7] op_sel_hi:[1,0,1]
	v_pk_fma_f32 v[4:5], v[226:227], s[48:49], v[6:7] op_sel_hi:[1,0,1] neg_lo:[0,0,1] neg_hi:[0,0,1]
	v_accvgpr_write_b32 a187, v3
	v_mov_b32_e32 v3, v5
	v_pk_add_f32 v[0:1], v[2:3], v[0:1]
	v_pk_mul_f32 v[2:3], v[28:29], s[40:41] op_sel:[1,0] op_sel_hi:[0,0]
	v_accvgpr_write_b32 a148, v4
	v_pk_fma_f32 v[6:7], v[116:117], s[56:57], v[2:3] op_sel_hi:[1,0,1]
	v_pk_fma_f32 v[4:5], v[116:117], s[56:57], v[2:3] op_sel_hi:[1,0,1] neg_lo:[0,0,1] neg_hi:[0,0,1]
	v_mov_b32_e32 v2, v6
	v_mov_b32_e32 v3, v5
	s_mov_b32 s74, s25
	s_mov_b32 s75, s36
	v_pk_add_f32 v[0:1], v[2:3], v[0:1]
	v_pk_mul_f32 v[2:3], v[90:91], s[74:75]
	v_accvgpr_write_b32 a150, v4
	v_accvgpr_write_b32 a191, v3
	s_mov_b32 s72, s15
	s_mov_b32 s73, s30
	v_pk_fma_f32 v[4:5], v[76:77], s[36:37], v[2:3]
	v_accvgpr_write_b32 a190, v2
	v_pk_fma_f32 v[2:3], v[76:77], s[36:37], v[2:3] neg_lo:[0,0,1] neg_hi:[0,0,1]
	v_accvgpr_write_b32 a193, v5
	v_mov_b32_e32 v2, v4
	v_pk_mul_f32 v[4:5], v[98:99], s[72:73]
	v_accvgpr_write_b32 a189, v7
	v_accvgpr_write_b32 a195, v5
	v_pk_fma_f32 v[6:7], v[78:79], s[30:31], v[4:5]
	v_accvgpr_write_b32 a194, v4
	v_pk_fma_f32 v[4:5], v[78:79], s[30:31], v[4:5] neg_lo:[0,0,1] neg_hi:[0,0,1]
	v_pk_add_f32 v[2:3], v[2:3], v[12:13]
	v_mov_b32_e32 v4, v6
	v_pk_add_f32 v[2:3], v[4:5], v[2:3]
	v_pk_mul_f32 v[4:5], v[48:49], s[8:9] op_sel_hi:[1,0]
	v_accvgpr_write_b32 a185, v9
	v_accvgpr_write_b32 a197, v7
	v_pk_fma_f32 v[8:9], v[92:93], s[56:57], v[4:5] op_sel:[0,0,1] op_sel_hi:[1,0,0]
	v_pk_fma_f32 v[6:7], v[92:93], s[56:57], v[4:5] op_sel:[0,0,1] op_sel_hi:[1,0,0] neg_lo:[0,0,1] neg_hi:[0,0,1]
	v_mov_b32_e32 v4, v8
	v_mov_b32_e32 v5, v7
	v_pk_add_f32 v[2:3], v[4:5], v[2:3]
	v_pk_mul_f32 v[4:5], v[80:81], s[66:67] op_sel:[1,0] op_sel_hi:[0,0]
	v_accvgpr_write_b32 a199, v9
	v_accvgpr_write_b32 a152, v6
	v_pk_fma_f32 v[8:9], v[226:227], s[44:45], v[4:5] op_sel_hi:[1,0,1]
	v_pk_fma_f32 v[6:7], v[226:227], s[44:45], v[4:5] op_sel_hi:[1,0,1] neg_lo:[0,0,1] neg_hi:[0,0,1]
	v_mov_b32_e32 v4, v8
	v_mov_b32_e32 v5, v7
	v_pk_add_f32 v[2:3], v[4:5], v[2:3]
	v_pk_mul_f32 v[4:5], v[28:29], s[42:43] op_sel:[1,0] op_sel_hi:[0,0]
	v_accvgpr_write_b32 a203, v9
	v_accvgpr_write_b32 a154, v6
	v_pk_fma_f32 v[8:9], v[116:117], s[64:65], v[4:5] op_sel_hi:[1,0,1]
	v_pk_fma_f32 v[6:7], v[116:117], s[64:65], v[4:5] op_sel_hi:[1,0,1] neg_lo:[0,0,1] neg_hi:[0,0,1]
	;; [unrolled: 8-line block ×8, first 2 shown]
	v_mov_b32_e32 v0, v6
	v_mov_b32_e32 v1, v9
	v_pk_add_f32 v[2:3], v[0:1], v[2:3]
	v_pk_add_f32 v[0:1], v[44:45], v[46:47]
	;; [unrolled: 1-line block ×4, first 2 shown]
	v_pk_add_f32 v[46:47], v[46:47], v[170:171] neg_lo:[0,1] neg_hi:[0,1]
	v_pk_add_f32 v[0:1], v[0:1], v[54:55]
	v_mov_b32_e32 v203, v135
	v_pk_add_f32 v[0:1], v[0:1], v[60:61]
	v_mov_b32_e32 v135, v46
	v_pk_add_f32 v[0:1], v[0:1], v[62:63]
	s_mov_b32 s68, s43
	v_pk_add_f32 v[0:1], v[0:1], v[72:73]
	s_mov_b32 s69, s42
	v_accvgpr_write_b32 a113, v25
	v_accvgpr_write_b32 a140, v10
	v_pk_add_f32 v[0:1], v[0:1], v[74:75]
	v_pk_add_f32 v[128:129], v[58:59], v[52:53]
	v_pk_add_f32 v[10:11], v[52:53], v[58:59] neg_lo:[0,1] neg_hi:[0,1]
	v_pk_mul_f32 v[24:25], v[134:135], s[68:69]
	v_pk_add_f32 v[0:1], v[0:1], v[94:95]
	v_mov_b32_e32 v202, v47
	v_mov_b32_e32 v47, v129
	;; [unrolled: 1-line block ×3, first 2 shown]
	v_accvgpr_write_b32 a229, v25
	v_accvgpr_write_b32 a127, v49
	v_pk_add_f32 v[0:1], v[0:1], v[96:97]
	v_mov_b32_e32 v46, v11
	v_pk_fma_f32 v[10:11], v[202:203], s[42:43], v[24:25] neg_lo:[1,0,0] neg_hi:[1,0,0]
	v_pk_fma_f32 v[146:147], v[202:203], s[42:43], v[24:25]
	v_accvgpr_write_b32 a228, v24
	v_pk_mul_f32 v[24:25], v[128:129], s[60:61]
	v_accvgpr_write_b32 a126, v48
	v_accvgpr_write_b32 a231, v21
	v_pk_add_f32 v[0:1], v[0:1], v[68:69]
	v_mov_b32_e32 v11, v147
	v_pk_fma_f32 v[52:53], v[46:47], s[10:11], v[24:25] neg_lo:[1,0,0] neg_hi:[1,0,0]
	v_pk_fma_f32 v[48:49], v[46:47], s[10:11], v[24:25]
	v_accvgpr_write_b32 a230, v20
	v_pk_add_f32 v[0:1], v[0:1], v[70:71]
	v_pk_add_f32 v[84:85], v[56:57], v[54:55]
	v_pk_add_f32 v[20:21], v[54:55], v[56:57] neg_lo:[0,1] neg_hi:[0,1]
	v_pk_add_f32 v[10:11], v[44:45], v[10:11]
	v_mov_b32_e32 v53, v49
	v_pk_add_f32 v[0:1], v[0:1], v[64:65]
	v_accvgpr_write_b32 a211, v25
	v_pk_add_f32 v[10:11], v[52:53], v[10:11]
	v_mov_b32_e32 v53, v85
	v_mov_b32_e32 v85, v20
	v_pk_add_f32 v[0:1], v[0:1], v[66:67]
	v_accvgpr_write_b32 a210, v24
	v_mov_b32_e32 v52, v21
	v_pk_mul_f32 v[24:25], v[84:85], s[62:63]
	v_accvgpr_write_b32 a153, v7
	v_pk_add_f32 v[124:125], v[66:67], v[60:61]
	v_pk_add_f32 v[6:7], v[60:61], v[66:67] neg_lo:[0,1] neg_hi:[0,1]
	v_pk_add_f32 v[0:1], v[0:1], v[56:57]
	v_pk_fma_f32 v[20:21], v[52:53], s[14:15], v[24:25] neg_lo:[1,0,0] neg_hi:[1,0,0]
	v_pk_fma_f32 v[54:55], v[52:53], s[14:15], v[24:25]
	v_pk_add_f32 v[0:1], v[0:1], v[58:59]
	v_mov_b32_e32 v21, v55
	v_mov_b32_e32 v59, v125
	;; [unrolled: 1-line block ×3, first 2 shown]
	v_pk_add_f32 v[10:11], v[20:21], v[10:11]
	v_mov_b32_e32 v58, v7
	v_pk_mul_f32 v[20:21], v[124:125], s[58:59]
	v_accvgpr_write_b32 a170, v8
	v_pk_add_f32 v[88:89], v[64:65], v[62:63]
	v_pk_add_f32 v[8:9], v[62:63], v[64:65] neg_lo:[0,1] neg_hi:[0,1]
	v_pk_fma_f32 v[6:7], v[58:59], s[8:9], v[20:21] neg_lo:[1,0,0] neg_hi:[1,0,0]
	v_pk_fma_f32 v[60:61], v[58:59], s[8:9], v[20:21]
	v_mov_b32_e32 v65, v89
	v_mov_b32_e32 v7, v61
	v_mov_b32_e32 v89, v8
	v_accvgpr_write_b32 a51, v5
	v_pk_add_f32 v[6:7], v[6:7], v[10:11]
	v_mov_b32_e32 v64, v9
	v_pk_mul_f32 v[10:11], v[88:89], s[70:71]
	v_accvgpr_write_b32 a112, v16
	v_accvgpr_write_b32 a50, v4
	;; [unrolled: 1-line block ×4, first 2 shown]
	v_pk_add_f32 v[16:17], v[70:71], v[72:73]
	v_pk_add_f32 v[2:3], v[72:73], v[70:71] neg_lo:[0,1] neg_hi:[0,1]
	v_pk_fma_f32 v[8:9], v[64:65], s[20:21], v[10:11] neg_lo:[1,0,0] neg_hi:[1,0,0]
	v_pk_fma_f32 v[66:67], v[64:65], s[20:21], v[10:11]
	v_mov_b32_e32 v71, v17
	v_mov_b32_e32 v9, v67
	;; [unrolled: 1-line block ×3, first 2 shown]
	v_pk_add_f32 v[6:7], v[8:9], v[6:7]
	v_mov_b32_e32 v70, v3
	v_pk_mul_f32 v[8:9], v[16:17], s[52:53]
	v_pk_add_f32 v[196:197], v[68:69], v[74:75]
	v_pk_add_f32 v[4:5], v[74:75], v[68:69] neg_lo:[0,1] neg_hi:[0,1]
	v_pk_fma_f32 v[2:3], v[70:71], s[18:19], v[8:9] neg_lo:[1,0,0] neg_hi:[1,0,0]
	v_pk_fma_f32 v[72:73], v[70:71], s[18:19], v[8:9]
	v_pk_add_f32 v[0:1], v[0:1], v[170:171]
	v_mov_b32_e32 v3, v73
	v_mov_b32_e32 v171, v197
	;; [unrolled: 1-line block ×3, first 2 shown]
	v_accvgpr_write_b32 a106, v18
	v_pk_add_f32 v[18:19], v[96:97], v[94:95]
	v_pk_add_f32 v[22:23], v[94:95], v[96:97] neg_lo:[0,1] neg_hi:[0,1]
	v_pk_add_f32 v[2:3], v[2:3], v[6:7]
	v_mov_b32_e32 v170, v5
	v_pk_mul_f32 v[6:7], v[196:197], s[74:75]
	v_mov_b32_e32 v131, v19
	v_pk_fma_f32 v[4:5], v[170:171], s[36:37], v[6:7] neg_lo:[1,0,0] neg_hi:[1,0,0]
	v_pk_fma_f32 v[190:191], v[170:171], s[36:37], v[6:7]
	v_accvgpr_write_b32 a225, v7
	v_mov_b32_e32 v19, v22
	v_accvgpr_write_b32 a224, v6
	v_mov_b32_e32 v5, v191
	v_mov_b32_e32 v130, v23
	v_pk_mul_f32 v[6:7], v[18:19], s[22:23]
	v_pk_add_f32 v[2:3], v[4:5], v[2:3]
	v_pk_fma_f32 v[4:5], v[130:131], s[16:17], v[6:7] neg_lo:[1,0,0] neg_hi:[1,0,0]
	v_pk_fma_f32 v[206:207], v[130:131], s[16:17], v[6:7]
	s_nop 0
	v_mov_b32_e32 v5, v207
	v_pk_add_f32 v[2:3], v[4:5], v[2:3]
	v_mul_lo_u16_e32 v4, 17, v82
	v_lshlrev_b32_e32 v169, 3, v4
	; wave barrier
	ds_write2_b64 v169, v[0:1], v[2:3] offset1:1
	v_pk_mul_f32 v[2:3], v[134:135], s[60:61]
	v_pk_mul_f32 v[4:5], v[128:129], s[58:59]
	v_pk_fma_f32 v[0:1], v[202:203], s[10:11], v[2:3] neg_lo:[1,0,0] neg_hi:[1,0,0]
	v_pk_fma_f32 v[94:95], v[202:203], s[10:11], v[2:3]
	v_accvgpr_write_b32 a233, v3
	v_accvgpr_write_b32 a232, v2
	v_mov_b32_e32 v1, v95
	v_pk_fma_f32 v[2:3], v[46:47], s[8:9], v[4:5] neg_lo:[1,0,0] neg_hi:[1,0,0]
	v_pk_fma_f32 v[164:165], v[46:47], s[8:9], v[4:5]
	v_accvgpr_write_b32 a235, v5
	v_pk_add_f32 v[0:1], v[44:45], v[0:1]
	v_accvgpr_write_b32 a234, v4
	v_mov_b32_e32 v3, v165
	v_pk_mul_f32 v[4:5], v[84:85], s[52:53]
	v_pk_add_f32 v[0:1], v[2:3], v[0:1]
	v_pk_fma_f32 v[2:3], v[52:53], s[18:19], v[4:5] neg_lo:[1,0,0] neg_hi:[1,0,0]
	v_pk_fma_f32 v[174:175], v[52:53], s[18:19], v[4:5]
	v_accvgpr_write_b32 a237, v5
	v_accvgpr_write_b32 a236, v4
	v_mov_b32_e32 v3, v175
	v_pk_mul_f32 v[4:5], v[124:125], s[22:23]
	v_pk_add_f32 v[0:1], v[2:3], v[0:1]
	v_pk_fma_f32 v[2:3], v[58:59], s[16:17], v[4:5] neg_lo:[1,0,0] neg_hi:[1,0,0]
	v_pk_fma_f32 v[104:105], v[58:59], s[16:17], v[4:5]
	v_accvgpr_write_b32 a239, v5
	;; [unrolled: 7-line block ×4, first 2 shown]
	v_accvgpr_write_b32 a242, v4
	v_mov_b32_e32 v3, v239
	v_pk_mul_f32 v[4:5], v[196:197], s[72:73]
	v_pk_add_f32 v[0:1], v[2:3], v[0:1]
	v_pk_fma_f32 v[2:3], v[170:171], s[30:31], v[4:5] neg_lo:[1,0,0] neg_hi:[1,0,0]
	v_pk_fma_f32 v[188:189], v[170:171], s[30:31], v[4:5]
	s_mov_b32 s65, s34
	v_mov_b32_e32 v3, v189
	v_pk_add_f32 v[0:1], v[2:3], v[0:1]
	v_pk_mul_f32 v[2:3], v[18:19], s[64:65]
	v_accvgpr_write_b32 a245, v5
	s_mov_b32 s35, s43
	v_accvgpr_write_b32 a247, v3
	v_accvgpr_write_b32 a244, v4
	v_pk_fma_f32 v[4:5], v[130:131], s[34:35], v[2:3] neg_lo:[1,0,0] neg_hi:[1,0,0]
	v_pk_fma_f32 v[194:195], v[130:131], s[34:35], v[2:3]
	v_accvgpr_write_b32 a246, v2
	v_pk_mul_f32 v[2:3], v[134:135], s[62:63]
	v_accvgpr_write_b32 a215, v21
	v_mov_b32_e32 v5, v195
	v_accvgpr_write_b32 a249, v3
	v_accvgpr_write_b32 a214, v20
	v_pk_add_f32 v[20:21], v[4:5], v[0:1]
	v_pk_fma_f32 v[0:1], v[202:203], s[14:15], v[2:3] neg_lo:[1,0,0] neg_hi:[1,0,0]
	v_pk_fma_f32 v[200:201], v[202:203], s[14:15], v[2:3]
	v_accvgpr_write_b32 a248, v2
	v_pk_mul_f32 v[2:3], v[128:129], s[52:53]
	s_mov_b32 s80, s22
	v_accvgpr_write_b32 a251, v3
	s_mov_b32 s81, s46
	v_accvgpr_write_b32 a227, v7
	v_mov_b32_e32 v1, v201
	v_pk_fma_f32 v[4:5], v[46:47], s[18:19], v[2:3] neg_lo:[1,0,0] neg_hi:[1,0,0]
	v_pk_fma_f32 v[204:205], v[46:47], s[18:19], v[2:3]
	v_accvgpr_write_b32 a250, v2
	s_mov_b32 s47, s22
	v_pk_mul_f32 v[2:3], v[84:85], s[80:81]
	v_accvgpr_write_b32 a226, v6
	v_pk_add_f32 v[0:1], v[44:45], v[0:1]
	v_mov_b32_e32 v5, v205
	v_pk_fma_f32 v[6:7], v[52:53], s[46:47], v[2:3] neg_lo:[1,0,0] neg_hi:[1,0,0]
	v_pk_fma_f32 v[208:209], v[52:53], s[46:47], v[2:3]
	v_accvgpr_write_b32 a253, v3
	v_pk_add_f32 v[0:1], v[4:5], v[0:1]
	v_accvgpr_write_b32 a252, v2
	v_mov_b32_e32 v7, v209
	v_pk_mul_f32 v[2:3], v[124:125], s[78:79]
	v_pk_add_f32 v[0:1], v[6:7], v[0:1]
	v_pk_fma_f32 v[22:23], v[58:59], s[28:29], v[2:3] neg_lo:[1,0,0] neg_hi:[1,0,0]
	v_pk_fma_f32 v[6:7], v[58:59], s[28:29], v[2:3]
	v_accvgpr_write_b32 a255, v3
	s_mov_b32 s80, s11
	s_mov_b32 s81, s26
	v_accvgpr_write_b32 a254, v2
	v_mov_b32_e32 v23, v7
	s_mov_b32 s27, s11
	v_pk_mul_f32 v[2:3], v[88:89], s[80:81]
	v_pk_add_f32 v[0:1], v[22:23], v[0:1]
	v_pk_fma_f32 v[22:23], v[64:65], s[26:27], v[2:3] neg_lo:[1,0,0] neg_hi:[1,0,0]
	v_pk_fma_f32 v[102:103], v[64:65], s[26:27], v[2:3]
	v_accvgpr_write_b32 a21, v3
	v_accvgpr_write_b32 a20, v2
	v_mov_b32_e32 v23, v103
	v_pk_mul_f32 v[2:3], v[16:17], s[68:69]
	v_pk_add_f32 v[0:1], v[22:23], v[0:1]
	v_pk_fma_f32 v[22:23], v[70:71], s[42:43], v[2:3] neg_lo:[1,0,0] neg_hi:[1,0,0]
	v_pk_fma_f32 v[160:161], v[70:71], s[42:43], v[2:3]
	v_accvgpr_write_b32 a0, v2
	v_accvgpr_write_b32 a1, v3
	v_mov_b32_e32 v23, v161
	v_pk_mul_f32 v[2:3], v[196:197], s[58:59]
	v_pk_add_f32 v[0:1], v[22:23], v[0:1]
	v_pk_fma_f32 v[22:23], v[170:171], s[8:9], v[2:3] neg_lo:[1,0,0] neg_hi:[1,0,0]
	v_pk_fma_f32 v[232:233], v[170:171], s[8:9], v[2:3]
	v_accvgpr_write_b32 a217, v81
	v_mov_b32_e32 v23, v233
	v_pk_add_f32 v[22:23], v[22:23], v[0:1]
	v_pk_mul_f32 v[0:1], v[18:19], s[74:75]
	v_accvgpr_write_b32 a216, v80
	v_pk_fma_f32 v[118:119], v[130:131], s[36:37], v[0:1] neg_lo:[1,0,0] neg_hi:[1,0,0]
	v_pk_fma_f32 v[80:81], v[130:131], s[36:37], v[0:1]
	v_accvgpr_write_b32 a5, v1
	v_mov_b32_e32 v119, v81
	v_accvgpr_write_b32 a4, v0
	v_pk_add_f32 v[22:23], v[118:119], v[22:23]
	v_pk_mul_f32 v[0:1], v[134:135], s[58:59]
	ds_write2_b64 v169, v[20:21], v[22:23] offset0:2 offset1:3
	v_pk_fma_f32 v[20:21], v[202:203], s[8:9], v[0:1] neg_lo:[1,0,0] neg_hi:[1,0,0]
	v_pk_fma_f32 v[140:141], v[202:203], s[8:9], v[0:1]
	v_pk_mul_f32 v[74:75], v[128:129], s[22:23]
	v_mov_b32_e32 v21, v141
	v_pk_fma_f32 v[22:23], v[46:47], s[16:17], v[74:75] neg_lo:[1,0,0] neg_hi:[1,0,0]
	v_pk_fma_f32 v[148:149], v[46:47], s[16:17], v[74:75]
	v_pk_add_f32 v[20:21], v[44:45], v[20:21]
	v_mov_b32_e32 v23, v149
	v_pk_mul_f32 v[68:69], v[84:85], s[78:79]
	v_pk_add_f32 v[20:21], v[22:23], v[20:21]
	v_pk_fma_f32 v[22:23], v[52:53], s[28:29], v[68:69] neg_lo:[1,0,0] neg_hi:[1,0,0]
	v_pk_fma_f32 v[158:159], v[52:53], s[28:29], v[68:69]
	v_pk_mul_f32 v[62:63], v[124:125], s[64:65]
	v_mov_b32_e32 v23, v159
	v_accvgpr_write_b32 a219, v11
	v_pk_add_f32 v[20:21], v[22:23], v[20:21]
	v_pk_fma_f32 v[22:23], v[58:59], s[34:35], v[62:63] neg_lo:[1,0,0] neg_hi:[1,0,0]
	v_pk_fma_f32 v[166:167], v[58:59], s[34:35], v[62:63]
	v_accvgpr_write_b32 a218, v10
	v_mov_b32_e32 v23, v167
	v_pk_mul_f32 v[10:11], v[88:89], s[62:63]
	v_accvgpr_write_b32 a223, v9
	v_pk_add_f32 v[20:21], v[22:23], v[20:21]
	v_pk_fma_f32 v[22:23], v[64:65], s[14:15], v[10:11] neg_lo:[1,0,0] neg_hi:[1,0,0]
	v_pk_fma_f32 v[138:139], v[64:65], s[14:15], v[10:11]
	v_accvgpr_write_b32 a222, v8
	v_mov_b32_e32 v23, v139
	v_pk_mul_f32 v[8:9], v[16:17], s[74:75]
	v_pk_add_f32 v[20:21], v[22:23], v[20:21]
	v_pk_fma_f32 v[22:23], v[70:71], s[36:37], v[8:9] neg_lo:[1,0,0] neg_hi:[1,0,0]
	v_pk_fma_f32 v[214:215], v[70:71], s[36:37], v[8:9]
	s_mov_b32 s82, s19
	s_mov_b32 s83, s66
	v_mov_b32_e32 v23, v215
	s_mov_b32 s67, s19
	v_pk_mul_f32 v[4:5], v[196:197], s[82:83]
	v_pk_add_f32 v[20:21], v[22:23], v[20:21]
	v_pk_fma_f32 v[22:23], v[170:171], s[66:67], v[4:5] neg_lo:[1,0,0] neg_hi:[1,0,0]
	v_pk_fma_f32 v[156:157], v[170:171], s[66:67], v[4:5]
	v_pk_mul_f32 v[56:57], v[18:19], s[80:81]
	v_mov_b32_e32 v23, v157
	v_pk_add_f32 v[20:21], v[22:23], v[20:21]
	v_pk_fma_f32 v[22:23], v[130:131], s[26:27], v[56:57] neg_lo:[1,0,0] neg_hi:[1,0,0]
	v_pk_fma_f32 v[224:225], v[130:131], s[26:27], v[56:57]
	v_pk_mul_f32 v[218:219], v[134:135], s[70:71]
	v_mov_b32_e32 v23, v225
	;; [unrolled: 5-line block ×3, first 2 shown]
	v_pk_fma_f32 v[118:119], v[46:47], s[24:25], v[228:229] neg_lo:[1,0,0] neg_hi:[1,0,0]
	v_pk_fma_f32 v[180:181], v[46:47], s[24:25], v[228:229]
	v_pk_add_f32 v[20:21], v[44:45], v[20:21]
	v_mov_b32_e32 v119, v181
	v_pk_mul_f32 v[186:187], v[84:85], s[80:81]
	v_pk_add_f32 v[20:21], v[118:119], v[20:21]
	v_pk_fma_f32 v[118:119], v[52:53], s[26:27], v[186:187] neg_lo:[1,0,0] neg_hi:[1,0,0]
	v_pk_fma_f32 v[230:231], v[52:53], s[26:27], v[186:187]
	v_pk_mul_f32 v[240:241], v[124:125], s[62:63]
	v_mov_b32_e32 v119, v231
	v_pk_add_f32 v[20:21], v[118:119], v[20:21]
	v_pk_fma_f32 v[118:119], v[58:59], s[14:15], v[240:241] neg_lo:[1,0,0] neg_hi:[1,0,0]
	v_pk_fma_f32 v[236:237], v[58:59], s[14:15], v[240:241]
	v_pk_mul_f32 v[244:245], v[88:89], s[22:23]
	v_mov_b32_e32 v119, v237
	v_pk_add_f32 v[20:21], v[118:119], v[20:21]
	v_pk_fma_f32 v[118:119], v[64:65], s[16:17], v[244:245] neg_lo:[1,0,0] neg_hi:[1,0,0]
	v_pk_fma_f32 v[242:243], v[64:65], s[16:17], v[244:245]
	s_mov_b32 s62, s9
	s_mov_b32 s63, s40
	v_mov_b32_e32 v119, v243
	s_mov_b32 s41, s9
	v_pk_mul_f32 v[248:249], v[16:17], s[62:63]
	v_pk_add_f32 v[20:21], v[118:119], v[20:21]
	v_pk_fma_f32 v[118:119], v[70:71], s[40:41], v[248:249] neg_lo:[1,0,0] neg_hi:[1,0,0]
	v_pk_fma_f32 v[246:247], v[70:71], s[40:41], v[248:249]
	v_pk_mul_f32 v[252:253], v[196:197], s[68:69]
	v_mov_b32_e32 v119, v247
	v_pk_add_f32 v[20:21], v[118:119], v[20:21]
	v_pk_fma_f32 v[118:119], v[170:171], s[42:43], v[252:253] neg_lo:[1,0,0] neg_hi:[1,0,0]
	v_pk_fma_f32 v[250:251], v[170:171], s[42:43], v[252:253]
	v_accvgpr_write_b32 a213, v25
	v_mov_b32_e32 v119, v251
	v_accvgpr_write_b32 a212, v24
	v_pk_add_f32 v[24:25], v[118:119], v[20:21]
	v_pk_mul_f32 v[20:21], v[18:19], s[52:53]
	v_accvgpr_write_b32 a102, v26
	v_pk_fma_f32 v[26:27], v[130:131], s[18:19], v[20:21] neg_lo:[1,0,0] neg_hi:[1,0,0]
	v_pk_fma_f32 v[118:119], v[130:131], s[18:19], v[20:21]
	v_accvgpr_write_b32 a221, v29
	v_mov_b32_e32 v27, v119
	v_pk_add_f32 v[24:25], v[26:27], v[24:25]
	ds_write2_b64 v169, v[22:23], v[24:25] offset0:4 offset1:5
	v_pk_mul_f32 v[22:23], v[134:135], s[52:53]
	v_accvgpr_write_b32 a220, v28
	v_accvgpr_write_b32 a129, v31
	v_pk_fma_f32 v[24:25], v[202:203], s[18:19], v[22:23] neg_lo:[1,0,0] neg_hi:[1,0,0]
	v_pk_fma_f32 v[26:27], v[202:203], s[18:19], v[22:23]
	v_pk_mul_f32 v[28:29], v[128:129], s[78:79]
	v_accvgpr_write_b32 a128, v30
	v_mov_b32_e32 v25, v27
	v_pk_fma_f32 v[30:31], v[46:47], s[28:29], v[28:29] neg_lo:[1,0,0] neg_hi:[1,0,0]
	v_pk_fma_f32 v[96:97], v[46:47], s[28:29], v[28:29]
	v_pk_add_f32 v[24:25], v[44:45], v[24:25]
	v_mov_b32_e32 v31, v97
	v_pk_add_f32 v[24:25], v[30:31], v[24:25]
	v_pk_mul_f32 v[30:31], v[84:85], s[68:69]
	v_accvgpr_write_b32 a101, v33
	v_accvgpr_write_b32 a94, v34
	v_pk_fma_f32 v[32:33], v[52:53], s[42:43], v[30:31] neg_lo:[1,0,0] neg_hi:[1,0,0]
	v_pk_fma_f32 v[34:35], v[52:53], s[42:43], v[30:31]
	v_accvgpr_write_b32 a103, v37
	v_mov_b32_e32 v33, v35
	v_pk_add_f32 v[24:25], v[32:33], v[24:25]
	v_pk_mul_f32 v[32:33], v[124:125], s[74:75]
	v_accvgpr_write_b32 a89, v39
	v_pk_fma_f32 v[126:127], v[58:59], s[36:37], v[32:33] neg_lo:[1,0,0] neg_hi:[1,0,0]
	v_pk_fma_f32 v[36:37], v[58:59], s[36:37], v[32:33]
	v_pk_mul_f32 v[38:39], v[88:89], s[62:63]
	v_mov_b32_e32 v127, v37
	v_pk_add_f32 v[24:25], v[126:127], v[24:25]
	v_pk_fma_f32 v[126:127], v[64:65], s[40:41], v[38:39] neg_lo:[1,0,0] neg_hi:[1,0,0]
	v_pk_fma_f32 v[132:133], v[64:65], s[40:41], v[38:39]
	v_accvgpr_write_b32 a95, v41
	v_mov_b32_e32 v127, v133
	v_pk_add_f32 v[24:25], v[126:127], v[24:25]
	v_pk_mul_f32 v[126:127], v[16:17], s[60:61]
	v_accvgpr_write_b32 a97, v43
	v_pk_fma_f32 v[142:143], v[70:71], s[10:11], v[126:127] neg_lo:[1,0,0] neg_hi:[1,0,0]
	v_pk_fma_f32 v[150:151], v[70:71], s[10:11], v[126:127]
	v_pk_mul_f32 v[182:183], v[128:129], s[72:73]
	v_mov_b32_e32 v143, v151
	v_pk_add_f32 v[24:25], v[142:143], v[24:25]
	v_pk_mul_f32 v[142:143], v[196:197], s[22:23]
	v_pk_fma_f32 v[184:185], v[46:47], s[30:31], v[182:183] neg_lo:[1,0,0] neg_hi:[1,0,0]
	v_pk_fma_f32 v[40:41], v[170:171], s[16:17], v[142:143] neg_lo:[1,0,0] neg_hi:[1,0,0]
	v_pk_fma_f32 v[42:43], v[170:171], s[16:17], v[142:143]
	v_pk_fma_f32 v[122:123], v[46:47], s[30:31], v[182:183]
	v_mov_b32_e32 v41, v43
	v_pk_add_f32 v[24:25], v[40:41], v[24:25]
	v_pk_mul_f32 v[40:41], v[18:19], s[72:73]
	v_mov_b32_e32 v185, v123
	v_pk_fma_f32 v[154:155], v[130:131], s[30:31], v[40:41] neg_lo:[1,0,0] neg_hi:[1,0,0]
	v_pk_fma_f32 v[114:115], v[130:131], s[30:31], v[40:41]
	v_accvgpr_write_b32 a2, v2
	v_mov_b32_e32 v155, v115
	v_pk_add_f32 v[24:25], v[154:155], v[24:25]
	v_pk_mul_f32 v[154:155], v[134:135], s[74:75]
	v_accvgpr_write_b32 a7, v1
	v_pk_fma_f32 v[172:173], v[202:203], s[36:37], v[154:155] neg_lo:[1,0,0] neg_hi:[1,0,0]
	v_pk_fma_f32 v[178:179], v[202:203], s[36:37], v[154:155]
	v_accvgpr_write_b32 a3, v3
	v_mov_b32_e32 v173, v179
	v_pk_add_f32 v[172:173], v[44:45], v[172:173]
	v_accvgpr_write_b32 a6, v0
	v_pk_add_f32 v[172:173], v[184:185], v[172:173]
	v_pk_mul_f32 v[184:185], v[84:85], s[58:59]
	v_accvgpr_write_b32 a202, v83           ;  Reload Reuse
	v_pk_fma_f32 v[198:199], v[52:53], s[8:9], v[184:185] neg_lo:[1,0,0] neg_hi:[1,0,0]
	v_pk_fma_f32 v[210:211], v[52:53], s[8:9], v[184:185]
	v_accvgpr_write_b32 a204, v82           ;  Reload Reuse
	v_mov_b32_e32 v199, v211
	v_pk_add_f32 v[172:173], v[198:199], v[172:173]
	v_pk_mul_f32 v[198:199], v[124:125], s[82:83]
	v_pk_mul_f32 v[128:129], v[128:129], s[64:65]
	v_pk_fma_f32 v[234:235], v[58:59], s[66:67], v[198:199] neg_lo:[1,0,0] neg_hi:[1,0,0]
	v_pk_fma_f32 v[254:255], v[58:59], s[66:67], v[198:199]
	v_pk_fma_f32 v[144:145], v[46:47], s[34:35], v[128:129]
	v_mov_b32_e32 v235, v255
	v_pk_add_f32 v[172:173], v[234:235], v[172:173]
	v_pk_mul_f32 v[234:235], v[88:89], s[68:69]
	v_pk_mul_f32 v[84:85], v[84:85], s[74:75]
	v_pk_fma_f32 v[0:1], v[64:65], s[42:43], v[234:235] neg_lo:[1,0,0] neg_hi:[1,0,0]
	v_pk_fma_f32 v[2:3], v[64:65], s[42:43], v[234:235]
	v_pk_fma_f32 v[152:153], v[52:53], s[36:37], v[84:85]
	;; [unrolled: 7-line block ×5, first 2 shown]
	v_mov_b32_e32 v87, v107
	v_pk_add_f32 v[0:1], v[86:87], v[0:1]
	ds_write2_b64 v169, v[24:25], v[0:1] offset0:6 offset1:7
	v_pk_mul_f32 v[0:1], v[134:135], s[22:23]
	v_pk_fma_f32 v[134:135], v[46:47], s[34:35], v[128:129] neg_lo:[1,0,0] neg_hi:[1,0,0]
	v_pk_fma_f32 v[24:25], v[202:203], s[16:17], v[0:1] neg_lo:[1,0,0] neg_hi:[1,0,0]
	v_pk_fma_f32 v[86:87], v[202:203], s[16:17], v[0:1]
	v_mov_b32_e32 v135, v145
	v_mov_b32_e32 v25, v87
	v_pk_add_f32 v[24:25], v[44:45], v[24:25]
	v_pk_fma_f32 v[0:1], v[202:203], s[16:17], v[0:1] neg_lo:[0,0,1] neg_hi:[0,0,1]
	v_pk_add_f32 v[24:25], v[134:135], v[24:25]
	v_pk_fma_f32 v[134:135], v[52:53], s[36:37], v[84:85] neg_lo:[1,0,0] neg_hi:[1,0,0]
	v_mov_b32_e32 v87, v1
	v_mov_b32_e32 v135, v153
	v_pk_add_f32 v[24:25], v[134:135], v[24:25]
	v_pk_fma_f32 v[134:135], v[58:59], s[26:27], v[124:125] neg_lo:[1,0,0] neg_hi:[1,0,0]
	v_pk_fma_f32 v[0:1], v[46:47], s[34:35], v[128:129] neg_lo:[0,0,1] neg_hi:[0,0,1]
	v_mov_b32_e32 v135, v163
	v_pk_add_f32 v[24:25], v[134:135], v[24:25]
	v_pk_fma_f32 v[134:135], v[64:65], s[18:19], v[88:89] neg_lo:[1,0,0] neg_hi:[1,0,0]
	v_mov_b32_e32 v145, v1
	v_mov_b32_e32 v135, v193
	v_pk_add_f32 v[24:25], v[134:135], v[24:25]
	v_pk_fma_f32 v[134:135], v[70:71], s[30:31], v[16:17] neg_lo:[1,0,0] neg_hi:[1,0,0]
	v_pk_add_f32 v[0:1], v[44:45], v[86:87]
	v_pk_fma_f32 v[84:85], v[52:53], s[36:37], v[84:85] neg_lo:[0,0,1] neg_hi:[0,0,1]
	v_mov_b32_e32 v135, v213
	v_pk_add_f32 v[0:1], v[144:145], v[0:1]
	v_mov_b32_e32 v153, v85
	v_pk_fma_f32 v[84:85], v[58:59], s[26:27], v[124:125] neg_lo:[0,0,1] neg_hi:[0,0,1]
	v_pk_add_f32 v[24:25], v[134:135], v[24:25]
	v_pk_mul_f32 v[134:135], v[196:197], s[70:71]
	v_pk_add_f32 v[0:1], v[152:153], v[0:1]
	v_mov_b32_e32 v163, v85
	v_pk_fma_f32 v[84:85], v[64:65], s[18:19], v[88:89] neg_lo:[0,0,1] neg_hi:[0,0,1]
	v_pk_fma_f32 v[196:197], v[170:171], s[20:21], v[134:135] neg_lo:[1,0,0] neg_hi:[1,0,0]
	v_pk_fma_f32 v[220:221], v[170:171], s[20:21], v[134:135]
	v_pk_add_f32 v[0:1], v[162:163], v[0:1]
	v_mov_b32_e32 v193, v85
	v_pk_fma_f32 v[16:17], v[70:71], s[30:31], v[16:17] neg_lo:[0,0,1] neg_hi:[0,0,1]
	v_mov_b32_e32 v197, v221
	v_pk_mul_f32 v[18:19], v[18:19], s[62:63]
	v_pk_add_f32 v[0:1], v[192:193], v[0:1]
	v_mov_b32_e32 v213, v17
	v_pk_fma_f32 v[16:17], v[170:171], s[20:21], v[134:135] neg_lo:[0,0,1] neg_hi:[0,0,1]
	v_pk_add_f32 v[24:25], v[196:197], v[24:25]
	v_pk_fma_f32 v[196:197], v[130:131], s[40:41], v[18:19] neg_lo:[1,0,0] neg_hi:[1,0,0]
	v_pk_fma_f32 v[222:223], v[130:131], s[40:41], v[18:19]
	v_pk_add_f32 v[0:1], v[212:213], v[0:1]
	v_mov_b32_e32 v221, v17
	v_pk_fma_f32 v[16:17], v[130:131], s[40:41], v[18:19] neg_lo:[0,0,1] neg_hi:[0,0,1]
	v_mov_b32_e32 v197, v223
	v_pk_add_f32 v[0:1], v[220:221], v[0:1]
	v_mov_b32_e32 v223, v17
	v_pk_add_f32 v[24:25], v[196:197], v[24:25]
	v_pk_add_f32 v[0:1], v[222:223], v[0:1]
	ds_write2_b64 v169, v[24:25], v[0:1] offset0:8 offset1:9
	v_pk_fma_f32 v[0:1], v[202:203], s[36:37], v[154:155] neg_lo:[0,0,1] neg_hi:[0,0,1]
	v_pk_fma_f32 v[16:17], v[52:53], s[8:9], v[184:185] neg_lo:[0,0,1] neg_hi:[0,0,1]
	v_mov_b32_e32 v179, v1
	v_pk_fma_f32 v[0:1], v[46:47], s[30:31], v[182:183] neg_lo:[0,0,1] neg_hi:[0,0,1]
	v_mov_b32_e32 v211, v17
	v_mov_b32_e32 v123, v1
	v_pk_add_f32 v[0:1], v[44:45], v[178:179]
	v_pk_fma_f32 v[16:17], v[58:59], s[66:67], v[198:199] neg_lo:[0,0,1] neg_hi:[0,0,1]
	v_pk_add_f32 v[0:1], v[122:123], v[0:1]
	v_mov_b32_e32 v255, v17
	v_pk_add_f32 v[0:1], v[210:211], v[0:1]
	v_pk_fma_f32 v[16:17], v[64:65], s[42:43], v[234:235] neg_lo:[0,0,1] neg_hi:[0,0,1]
	v_pk_add_f32 v[0:1], v[254:255], v[0:1]
	v_mov_b32_e32 v3, v17
	v_pk_add_f32 v[0:1], v[2:3], v[0:1]
	v_pk_fma_f32 v[2:3], v[70:71], s[16:17], v[172:173] neg_lo:[0,0,1] neg_hi:[0,0,1]
	v_pk_fma_f32 v[16:17], v[52:53], s[42:43], v[30:31] neg_lo:[0,0,1] neg_hi:[0,0,1]
	v_mov_b32_e32 v113, v3
	v_pk_fma_f32 v[2:3], v[170:171], s[26:27], v[82:83] neg_lo:[0,0,1] neg_hi:[0,0,1]
	v_mov_b32_e32 v35, v17
	v_mov_b32_e32 v111, v3
	v_pk_fma_f32 v[2:3], v[130:131], s[20:21], v[216:217] neg_lo:[0,0,1] neg_hi:[0,0,1]
	v_pk_fma_f32 v[16:17], v[58:59], s[36:37], v[32:33] neg_lo:[0,0,1] neg_hi:[0,0,1]
	v_mov_b32_e32 v107, v3
	v_pk_fma_f32 v[2:3], v[202:203], s[18:19], v[22:23] neg_lo:[0,0,1] neg_hi:[0,0,1]
	v_mov_b32_e32 v37, v17
	v_mov_b32_e32 v27, v3
	v_pk_fma_f32 v[2:3], v[46:47], s[28:29], v[28:29] neg_lo:[0,0,1] neg_hi:[0,0,1]
	v_pk_fma_f32 v[16:17], v[64:65], s[40:41], v[38:39] neg_lo:[0,0,1] neg_hi:[0,0,1]
	v_mov_b32_e32 v97, v3
	v_pk_add_f32 v[2:3], v[44:45], v[26:27]
	v_mov_b32_e32 v133, v17
	v_pk_add_f32 v[2:3], v[96:97], v[2:3]
	v_pk_fma_f32 v[16:17], v[70:71], s[10:11], v[126:127] neg_lo:[0,0,1] neg_hi:[0,0,1]
	v_pk_add_f32 v[2:3], v[34:35], v[2:3]
	v_mov_b32_e32 v151, v17
	v_pk_add_f32 v[2:3], v[36:37], v[2:3]
	v_pk_fma_f32 v[16:17], v[170:171], s[16:17], v[142:143] neg_lo:[0,0,1] neg_hi:[0,0,1]
	v_pk_add_f32 v[2:3], v[132:133], v[2:3]
	v_pk_add_f32 v[0:1], v[112:113], v[0:1]
	;; [unrolled: 1-line block ×3, first 2 shown]
	v_mov_b32_e32 v43, v17
	v_pk_fma_f32 v[16:17], v[130:131], s[30:31], v[40:41] neg_lo:[0,0,1] neg_hi:[0,0,1]
	v_pk_add_f32 v[0:1], v[110:111], v[0:1]
	v_pk_add_f32 v[2:3], v[42:43], v[2:3]
	v_mov_b32_e32 v115, v17
	v_pk_add_f32 v[0:1], v[106:107], v[0:1]
	v_pk_add_f32 v[2:3], v[114:115], v[2:3]
	ds_write2_b64 v169, v[0:1], v[2:3] offset0:10 offset1:11
	v_pk_fma_f32 v[2:3], v[52:53], s[26:27], v[186:187] neg_lo:[0,0,1] neg_hi:[0,0,1]
	v_pk_fma_f32 v[0:1], v[202:203], s[20:21], v[218:219] neg_lo:[0,0,1] neg_hi:[0,0,1]
	v_mov_b32_e32 v231, v3
	v_pk_fma_f32 v[2:3], v[58:59], s[14:15], v[240:241] neg_lo:[0,0,1] neg_hi:[0,0,1]
	v_mov_b32_e32 v177, v1
	v_mov_b32_e32 v237, v3
	v_pk_fma_f32 v[2:3], v[64:65], s[16:17], v[244:245] neg_lo:[0,0,1] neg_hi:[0,0,1]
	v_pk_fma_f32 v[0:1], v[46:47], s[24:25], v[228:229] neg_lo:[0,0,1] neg_hi:[0,0,1]
	v_mov_b32_e32 v243, v3
	v_pk_fma_f32 v[2:3], v[70:71], s[40:41], v[248:249] neg_lo:[0,0,1] neg_hi:[0,0,1]
	v_mov_b32_e32 v181, v1
	v_mov_b32_e32 v247, v3
	v_pk_fma_f32 v[2:3], v[170:171], s[42:43], v[252:253] neg_lo:[0,0,1] neg_hi:[0,0,1]
	v_pk_add_f32 v[0:1], v[44:45], v[176:177]
	v_mov_b32_e32 v251, v3
	v_pk_fma_f32 v[2:3], v[130:131], s[18:19], v[20:21] neg_lo:[0,0,1] neg_hi:[0,0,1]
	v_pk_fma_f32 v[16:17], v[52:53], s[28:29], v[68:69] neg_lo:[0,0,1] neg_hi:[0,0,1]
	v_mov_b32_e32 v119, v3
	v_accvgpr_read_b32 v2, a6
	v_accvgpr_read_b32 v3, a7
	v_pk_fma_f32 v[2:3], v[202:203], s[8:9], v[2:3] neg_lo:[0,0,1] neg_hi:[0,0,1]
	v_pk_add_f32 v[0:1], v[180:181], v[0:1]
	v_mov_b32_e32 v141, v3
	v_pk_fma_f32 v[2:3], v[46:47], s[16:17], v[74:75] neg_lo:[0,0,1] neg_hi:[0,0,1]
	v_mov_b32_e32 v159, v17
	v_mov_b32_e32 v149, v3
	v_pk_add_f32 v[2:3], v[44:45], v[140:141]
	v_pk_fma_f32 v[16:17], v[58:59], s[34:35], v[62:63] neg_lo:[0,0,1] neg_hi:[0,0,1]
	v_pk_add_f32 v[2:3], v[148:149], v[2:3]
	v_pk_add_f32 v[0:1], v[230:231], v[0:1]
	;; [unrolled: 1-line block ×3, first 2 shown]
	v_mov_b32_e32 v167, v17
	v_pk_fma_f32 v[10:11], v[64:65], s[14:15], v[10:11] neg_lo:[0,0,1] neg_hi:[0,0,1]
	v_pk_add_f32 v[0:1], v[236:237], v[0:1]
	v_pk_add_f32 v[2:3], v[166:167], v[2:3]
	v_mov_b32_e32 v139, v11
	v_pk_fma_f32 v[8:9], v[70:71], s[36:37], v[8:9] neg_lo:[0,0,1] neg_hi:[0,0,1]
	v_pk_add_f32 v[0:1], v[242:243], v[0:1]
	v_pk_add_f32 v[2:3], v[138:139], v[2:3]
	;; [unrolled: 4-line block ×4, first 2 shown]
	v_mov_b32_e32 v225, v5
	v_pk_add_f32 v[0:1], v[118:119], v[0:1]
	v_pk_add_f32 v[2:3], v[224:225], v[2:3]
	ds_write2_b64 v169, v[0:1], v[2:3] offset0:12 offset1:13
	v_accvgpr_read_b32 v2, a252
	v_accvgpr_read_b32 v3, a253
	v_pk_fma_f32 v[2:3], v[52:53], s[46:47], v[2:3] neg_lo:[0,0,1] neg_hi:[0,0,1]
	v_accvgpr_read_b32 v4, a236
	v_mov_b32_e32 v209, v3
	v_accvgpr_read_b32 v2, a254
	v_accvgpr_read_b32 v3, a255
	v_pk_fma_f32 v[2:3], v[58:59], s[28:29], v[2:3] neg_lo:[0,0,1] neg_hi:[0,0,1]
	v_accvgpr_read_b32 v5, a237
	v_mov_b32_e32 v7, v3
	v_accvgpr_read_b32 v2, a20
	v_accvgpr_read_b32 v3, a21
	v_pk_fma_f32 v[2:3], v[64:65], s[26:27], v[2:3] neg_lo:[0,0,1] neg_hi:[0,0,1]
	v_pk_fma_f32 v[4:5], v[52:53], s[18:19], v[4:5] neg_lo:[0,0,1] neg_hi:[0,0,1]
	v_mov_b32_e32 v103, v3
	v_accvgpr_read_b32 v3, a1
	v_accvgpr_read_b32 v2, a0
	v_pk_fma_f32 v[2:3], v[70:71], s[42:43], v[2:3] neg_lo:[0,0,1] neg_hi:[0,0,1]
	v_mov_b32_e32 v175, v5
	v_mov_b32_e32 v161, v3
	v_accvgpr_read_b32 v2, a2
	v_accvgpr_read_b32 v3, a3
	v_pk_fma_f32 v[2:3], v[170:171], s[8:9], v[2:3] neg_lo:[0,0,1] neg_hi:[0,0,1]
	v_accvgpr_read_b32 v4, a238
	v_mov_b32_e32 v233, v3
	v_accvgpr_read_b32 v2, a4
	v_accvgpr_read_b32 v3, a5
	v_accvgpr_read_b32 v5, a239
	v_pk_fma_f32 v[2:3], v[130:131], s[36:37], v[2:3] neg_lo:[0,0,1] neg_hi:[0,0,1]
	v_pk_fma_f32 v[4:5], v[58:59], s[16:17], v[4:5] neg_lo:[0,0,1] neg_hi:[0,0,1]
	v_accvgpr_read_b32 v0, a248
	v_mov_b32_e32 v81, v3
	v_accvgpr_read_b32 v2, a232
	v_mov_b32_e32 v105, v5
	v_accvgpr_read_b32 v4, a240
	v_accvgpr_read_b32 v1, a249
	;; [unrolled: 1-line block ×4, first 2 shown]
	v_pk_fma_f32 v[0:1], v[202:203], s[14:15], v[0:1] neg_lo:[0,0,1] neg_hi:[0,0,1]
	v_pk_fma_f32 v[2:3], v[202:203], s[10:11], v[2:3] neg_lo:[0,0,1] neg_hi:[0,0,1]
	;; [unrolled: 1-line block ×3, first 2 shown]
	v_mov_b32_e32 v201, v1
	v_accvgpr_read_b32 v0, a250
	v_mov_b32_e32 v95, v3
	v_accvgpr_read_b32 v2, a234
	;; [unrolled: 2-line block ×3, first 2 shown]
	v_accvgpr_read_b32 v1, a251
	v_accvgpr_read_b32 v3, a235
	;; [unrolled: 1-line block ×3, first 2 shown]
	v_pk_fma_f32 v[0:1], v[46:47], s[18:19], v[0:1] neg_lo:[0,0,1] neg_hi:[0,0,1]
	v_pk_fma_f32 v[2:3], v[46:47], s[8:9], v[2:3] neg_lo:[0,0,1] neg_hi:[0,0,1]
	;; [unrolled: 1-line block ×3, first 2 shown]
	v_mov_b32_e32 v205, v1
	v_pk_add_f32 v[0:1], v[44:45], v[200:201]
	v_mov_b32_e32 v165, v3
	v_pk_add_f32 v[2:3], v[44:45], v[94:95]
	v_mov_b32_e32 v239, v5
	v_accvgpr_read_b32 v4, a244
	v_pk_add_f32 v[0:1], v[204:205], v[0:1]
	v_pk_add_f32 v[2:3], v[164:165], v[2:3]
	v_accvgpr_read_b32 v5, a245
	v_pk_add_f32 v[0:1], v[208:209], v[0:1]
	v_pk_add_f32 v[2:3], v[174:175], v[2:3]
	v_pk_fma_f32 v[4:5], v[170:171], s[30:31], v[4:5] neg_lo:[0,0,1] neg_hi:[0,0,1]
	v_pk_add_f32 v[0:1], v[6:7], v[0:1]
	v_pk_add_f32 v[2:3], v[104:105], v[2:3]
	v_mov_b32_e32 v189, v5
	v_accvgpr_read_b32 v4, a246
	v_pk_add_f32 v[0:1], v[102:103], v[0:1]
	v_pk_add_f32 v[2:3], v[108:109], v[2:3]
	v_accvgpr_read_b32 v5, a247
	v_pk_add_f32 v[0:1], v[160:161], v[0:1]
	v_pk_add_f32 v[2:3], v[238:239], v[2:3]
	v_pk_fma_f32 v[4:5], v[130:131], s[34:35], v[4:5] neg_lo:[0,0,1] neg_hi:[0,0,1]
	v_accvgpr_read_b32 v96, a122
	v_pk_add_f32 v[0:1], v[232:233], v[0:1]
	v_pk_add_f32 v[2:3], v[188:189], v[2:3]
	v_mov_b32_e32 v195, v5
	v_accvgpr_read_b32 v97, a123
	v_pk_add_f32 v[0:1], v[80:81], v[0:1]
	v_pk_add_f32 v[2:3], v[194:195], v[2:3]
	v_accvgpr_read_b32 v6, a110
	ds_write2_b64 v169, v[0:1], v[2:3] offset0:14 offset1:15
	v_pk_mul_f32 v[2:3], v[96:97], s[10:11] op_sel:[1,0] op_sel_hi:[0,0]
	v_accvgpr_read_b32 v7, a111
	v_pk_mul_f32 v[102:103], v[90:91], s[68:69]
	v_pk_fma_f32 v[4:5], v[6:7], s[50:51], v[2:3] op_sel_hi:[1,0,1]
	v_pk_fma_f32 v[6:7], v[6:7], s[50:51], v[2:3] op_sel_hi:[1,0,1] neg_lo:[0,0,1] neg_hi:[0,0,1]
	v_pk_fma_f32 v[24:25], v[76:77], s[42:43], v[102:103]
	v_pk_fma_f32 v[2:3], v[76:77], s[42:43], v[102:103] neg_lo:[0,0,1] neg_hi:[0,0,1]
	v_accvgpr_read_b32 v86, a126
	v_mov_b32_e32 v2, v24
	v_accvgpr_read_b32 v87, a127
	v_pk_add_f32 v[2:3], v[2:3], v[12:13]
	v_mov_b32_e32 v8, v4
	v_mov_b32_e32 v9, v7
	v_pk_add_f32 v[2:3], v[8:9], v[2:3]
	v_pk_mul_f32 v[8:9], v[86:87], s[14:15] op_sel_hi:[1,0]
	v_accvgpr_read_b32 v30, a216
	v_pk_fma_f32 v[10:11], v[92:93], s[54:55], v[8:9] op_sel:[0,0,1] op_sel_hi:[1,0,0]
	v_pk_fma_f32 v[16:17], v[92:93], s[54:55], v[8:9] op_sel:[0,0,1] op_sel_hi:[1,0,0] neg_lo:[0,0,1] neg_hi:[0,0,1]
	v_accvgpr_read_b32 v31, a217
	v_mov_b32_e32 v8, v10
	v_mov_b32_e32 v9, v17
	v_accvgpr_read_b32 v0, a228
	v_pk_add_f32 v[2:3], v[8:9], v[2:3]
	v_pk_mul_f32 v[8:9], v[30:31], s[8:9] op_sel:[1,0] op_sel_hi:[0,0]
	v_accvgpr_read_b32 v32, a220
	v_accvgpr_read_b32 v1, a229
	v_pk_fma_f32 v[18:19], v[226:227], s[56:57], v[8:9] op_sel_hi:[1,0,1]
	v_pk_fma_f32 v[20:21], v[226:227], s[56:57], v[8:9] op_sel_hi:[1,0,1] neg_lo:[0,0,1] neg_hi:[0,0,1]
	v_accvgpr_read_b32 v33, a221
	v_pk_fma_f32 v[0:1], v[202:203], s[42:43], v[0:1] neg_lo:[0,0,1] neg_hi:[0,0,1]
	v_mov_b32_e32 v8, v18
	v_mov_b32_e32 v9, v21
	;; [unrolled: 1-line block ×3, first 2 shown]
	v_pk_add_f32 v[2:3], v[8:9], v[2:3]
	v_pk_mul_f32 v[8:9], v[32:33], s[20:21] op_sel:[1,0] op_sel_hi:[0,0]
	v_accvgpr_read_b32 v34, a128
	v_pk_add_f32 v[0:1], v[44:45], v[146:147]
	v_pk_fma_f32 v[22:23], v[116:117], s[38:39], v[8:9] op_sel_hi:[1,0,1]
	v_pk_fma_f32 v[44:45], v[116:117], s[38:39], v[8:9] op_sel_hi:[1,0,1] neg_lo:[0,0,1] neg_hi:[0,0,1]
	v_accvgpr_read_b32 v35, a129
	v_mov_b32_e32 v8, v22
	v_mov_b32_e32 v9, v45
	v_pk_add_f32 v[2:3], v[8:9], v[2:3]
	v_pk_mul_f32 v[8:9], v[34:35], s[18:19] op_sel:[1,0] op_sel_hi:[0,0]
	v_accvgpr_read_b32 v36, a230
	v_pk_fma_f32 v[74:75], v[120:121], s[44:45], v[8:9] op_sel_hi:[1,0,1]
	v_pk_fma_f32 v[80:81], v[120:121], s[44:45], v[8:9] op_sel_hi:[1,0,1] neg_lo:[0,0,1] neg_hi:[0,0,1]
	v_accvgpr_read_b32 v37, a231
	v_mov_b32_e32 v8, v74
	v_mov_b32_e32 v9, v81
	v_pk_add_f32 v[2:3], v[8:9], v[2:3]
	v_pk_mul_f32 v[8:9], v[36:37], s[36:37] op_sel:[1,0] op_sel_hi:[0,0]
	v_pk_fma_f32 v[84:85], v[136:137], s[48:49], v[8:9] op_sel_hi:[1,0,1]
	v_pk_fma_f32 v[88:89], v[136:137], s[48:49], v[8:9] op_sel_hi:[1,0,1] neg_lo:[0,0,1] neg_hi:[0,0,1]
	v_mov_b64_e32 v[38:39], v[100:101]
	v_mov_b32_e32 v8, v84
	v_mov_b32_e32 v9, v89
	v_pk_add_f32 v[2:3], v[8:9], v[2:3]
	v_pk_mul_f32 v[8:9], v[38:39], s[16:17] op_sel:[1,0] op_sel_hi:[0,0]
	v_pk_fma_f32 v[94:95], v[50:51], s[22:23], v[8:9] op_sel_hi:[1,0,1]
	v_pk_fma_f32 v[100:101], v[50:51], s[22:23], v[8:9] op_sel_hi:[1,0,1] neg_lo:[0,0,1] neg_hi:[0,0,1]
	v_mov_b32_e32 v8, v94
	v_mov_b32_e32 v9, v101
	v_pk_add_f32 v[2:3], v[8:9], v[2:3]
	v_accvgpr_read_b32 v83, a202            ;  Reload Reuse
	v_accvgpr_write_b32 a129, v3
	v_accvgpr_write_b32 a128, v2
	v_accvgpr_read_b32 v2, a210
	v_accvgpr_read_b32 v3, a211
	v_pk_fma_f32 v[2:3], v[46:47], s[10:11], v[2:3] neg_lo:[0,0,1] neg_hi:[0,0,1]
	v_accvgpr_read_b32 v82, a204            ;  Reload Reuse
	v_mov_b32_e32 v49, v3
	v_accvgpr_read_b32 v2, a212
	v_accvgpr_read_b32 v3, a213
	v_pk_fma_f32 v[2:3], v[52:53], s[14:15], v[2:3] neg_lo:[0,0,1] neg_hi:[0,0,1]
	v_pk_add_f32 v[0:1], v[48:49], v[0:1]
	v_mov_b32_e32 v55, v3
	v_accvgpr_read_b32 v2, a214
	v_accvgpr_read_b32 v3, a215
	v_pk_fma_f32 v[2:3], v[58:59], s[8:9], v[2:3] neg_lo:[0,0,1] neg_hi:[0,0,1]
	v_pk_add_f32 v[0:1], v[54:55], v[0:1]
	;; [unrolled: 5-line block ×6, first 2 shown]
	v_mov_b32_e32 v207, v3
	v_pk_add_f32 v[0:1], v[206:207], v[0:1]
	v_lshl_add_u64 v[48:49], v[82:83], 0, 51
	ds_write_b64 v169, v[0:1] offset:128
	v_mul_u32_u24_e32 v0, 17, v48
	v_accvgpr_write_b32 a73, v0
	s_and_saveexec_b64 s[38:39], vcc
	s_cbranch_execz .LBB0_7
; %bb.6:
	v_accvgpr_read_b32 v26, a80
	v_pk_add_f32 v[0:1], v[14:15], v[12:13]
	v_accvgpr_read_b32 v27, a81
	v_accvgpr_read_b32 v28, a82
	;; [unrolled: 1-line block ×3, first 2 shown]
	v_pk_add_f32 v[0:1], v[26:27], v[0:1]
	v_accvgpr_read_b32 v71, a67
	v_pk_add_f32 v[14:15], v[28:29], v[0:1]
	v_accvgpr_read_b32 v69, a65
	v_accvgpr_read_b32 v68, a64
	v_mov_b32_e32 v28, v33
	v_mov_b32_e32 v29, v32
	v_accvgpr_read_b32 v32, a190
	v_accvgpr_read_b32 v70, a66
	v_pk_add_f32 v[14:15], v[68:69], v[14:15]
	v_mov_b32_e32 v26, v31
	v_mov_b32_e32 v27, v30
	;; [unrolled: 1-line block ×4, first 2 shown]
	v_pk_mul_f32 v[30:31], v[76:77], s[36:37]
	v_accvgpr_read_b32 v33, a191
	v_accvgpr_read_b32 v34, a194
	v_pk_add_f32 v[14:15], v[70:71], v[14:15]
	v_accvgpr_read_b32 v71, a59
	v_mov_b32_e32 v2, v37
	v_mov_b32_e32 v3, v36
	v_pk_add_f32 v[30:31], v[32:33], v[30:31] neg_lo:[0,1] neg_hi:[0,1]
	v_pk_mul_f32 v[32:33], v[78:79], s[30:31]
	v_accvgpr_read_b32 v35, a195
	v_accvgpr_read_b32 v36, a178
	;; [unrolled: 1-line block ×4, first 2 shown]
	v_mov_b32_e32 v0, v39
	v_mov_b32_e32 v1, v38
	v_pk_add_f32 v[32:33], v[34:35], v[32:33] neg_lo:[0,1] neg_hi:[0,1]
	v_pk_mul_f32 v[34:35], v[76:77], s[18:19]
	v_accvgpr_read_b32 v37, a179
	v_accvgpr_read_b32 v38, a180
	;; [unrolled: 1-line block ×3, first 2 shown]
	v_pk_add_f32 v[14:15], v[68:69], v[14:15]
	v_pk_add_f32 v[34:35], v[36:37], v[34:35] neg_lo:[0,1] neg_hi:[0,1]
	v_pk_mul_f32 v[36:37], v[78:79], s[28:29]
	v_accvgpr_read_b32 v39, a181
	v_accvgpr_read_b32 v40, a174
	v_pk_add_f32 v[14:15], v[70:71], v[14:15]
	v_accvgpr_read_b32 v71, a55
	v_pk_add_f32 v[36:37], v[38:39], v[36:37] neg_lo:[0,1] neg_hi:[0,1]
	v_pk_mul_f32 v[38:39], v[76:77], s[20:21]
	v_accvgpr_read_b32 v41, a175
	v_accvgpr_read_b32 v42, a176
	;; [unrolled: 1-line block ×4, first 2 shown]
	v_pk_add_f32 v[38:39], v[40:41], v[38:39] neg_lo:[0,1] neg_hi:[0,1]
	v_pk_mul_f32 v[40:41], v[78:79], s[24:25]
	v_accvgpr_read_b32 v43, a177
	v_accvgpr_read_b32 v46, a162
	v_accvgpr_read_b32 v70, a54
	v_pk_add_f32 v[14:15], v[68:69], v[14:15]
	v_pk_add_f32 v[40:41], v[42:43], v[40:41] neg_lo:[0,1] neg_hi:[0,1]
	v_pk_mul_f32 v[42:43], v[76:77], s[8:9]
	v_accvgpr_read_b32 v47, a163
	v_accvgpr_read_b32 v52, a164
	v_pk_add_f32 v[14:15], v[70:71], v[14:15]
	v_accvgpr_read_b32 v71, a63
	v_pk_add_f32 v[42:43], v[46:47], v[42:43] neg_lo:[0,1] neg_hi:[0,1]
	v_pk_mul_f32 v[46:47], v[78:79], s[16:17]
	v_accvgpr_read_b32 v53, a165
	v_accvgpr_read_b32 v54, a90
	;; [unrolled: 1-line block ×4, first 2 shown]
	v_pk_add_f32 v[46:47], v[52:53], v[46:47] neg_lo:[0,1] neg_hi:[0,1]
	v_pk_mul_f32 v[52:53], v[76:77], s[14:15]
	v_accvgpr_read_b32 v55, a91
	v_accvgpr_read_b32 v56, a92
	;; [unrolled: 1-line block ×3, first 2 shown]
	v_pk_add_f32 v[14:15], v[68:69], v[14:15]
	v_pk_add_f32 v[52:53], v[54:55], v[52:53] neg_lo:[0,1] neg_hi:[0,1]
	v_pk_mul_f32 v[54:55], v[78:79], s[18:19]
	v_accvgpr_read_b32 v57, a93
	v_accvgpr_read_b32 v58, a84
	v_pk_add_f32 v[14:15], v[70:71], v[14:15]
	v_accvgpr_read_b32 v68, a68
	v_pk_add_f32 v[54:55], v[56:57], v[54:55] neg_lo:[0,1] neg_hi:[0,1]
	v_pk_mul_f32 v[56:57], v[76:77], s[10:11]
	v_accvgpr_read_b32 v59, a85
	v_accvgpr_read_b32 v60, a86
	;; [unrolled: 1-line block ×3, first 2 shown]
	v_pk_add_f32 v[56:57], v[58:59], v[56:57] neg_lo:[0,1] neg_hi:[0,1]
	v_pk_mul_f32 v[58:59], v[78:79], s[8:9]
	v_accvgpr_read_b32 v61, a87
	v_accvgpr_read_b32 v70, a70
	;; [unrolled: 1-line block ×3, first 2 shown]
	v_pk_add_f32 v[14:15], v[68:69], v[14:15]
	v_pk_add_f32 v[58:59], v[60:61], v[58:59] neg_lo:[0,1] neg_hi:[0,1]
	v_pk_mul_f32 v[60:61], v[76:77], s[42:43]
	v_pk_add_f32 v[14:15], v[70:71], v[14:15]
	v_accvgpr_read_b32 v68, a76
	v_pk_add_f32 v[60:61], v[102:103], v[60:61] neg_lo:[0,1] neg_hi:[0,1]
	v_accvgpr_read_b32 v69, a77
	v_mov_b32_e32 v61, v25
	v_accvgpr_read_b32 v70, a78
	v_accvgpr_read_b32 v71, a79
	v_pk_add_f32 v[14:15], v[68:69], v[14:15]
	v_accvgpr_read_b32 v24, a74
	v_accvgpr_read_b32 v7, a73
	v_pk_add_f32 v[14:15], v[70:71], v[14:15]
	v_accvgpr_read_b32 v25, a75
	v_lshlrev_b32_e32 v49, 3, v7
	v_pk_add_f32 v[14:15], v[24:25], v[14:15]
	v_pk_add_f32 v[24:25], v[60:61], v[12:13]
	v_mov_b32_e32 v7, v5
	v_pk_add_f32 v[6:7], v[6:7], v[24:25]
	v_mov_b32_e32 v17, v11
	;; [unrolled: 2-line block ×7, first 2 shown]
	v_accvgpr_read_b32 v57, a29
	v_pk_add_f32 v[6:7], v[100:101], v[6:7]
	v_accvgpr_read_b32 v59, a89
	ds_write2_b64 v49, v[14:15], v[6:7] offset1:1
	v_pk_add_f32 v[6:7], v[56:57], v[12:13]
	v_accvgpr_read_b32 v10, a88
	v_pk_add_f32 v[6:7], v[58:59], v[6:7]
	v_accvgpr_read_b32 v11, a99
	v_pk_add_f32 v[6:7], v[10:11], v[6:7]
	v_accvgpr_read_b32 v10, a96
	v_accvgpr_read_b32 v11, a105
	v_pk_add_f32 v[6:7], v[10:11], v[6:7]
	v_accvgpr_read_b32 v10, a100
	v_accvgpr_read_b32 v11, a109
	v_pk_add_f32 v[6:7], v[10:11], v[6:7]
	v_accvgpr_read_b32 v10, a104
	;; [unrolled: 3-line block ×3, first 2 shown]
	v_accvgpr_read_b32 v11, a119
	v_accvgpr_read_b32 v53, a103
	v_pk_add_f32 v[6:7], v[10:11], v[6:7]
	v_accvgpr_read_b32 v10, a118
	v_accvgpr_read_b32 v11, a125
	;; [unrolled: 1-line block ×3, first 2 shown]
	v_pk_add_f32 v[6:7], v[10:11], v[6:7]
	v_pk_add_f32 v[10:11], v[52:53], v[12:13]
	v_accvgpr_read_b32 v72, a72
	v_accvgpr_read_b32 v73, a97
	v_pk_add_f32 v[10:11], v[54:55], v[10:11]
	v_accvgpr_read_b32 v14, a94
	v_pk_add_f32 v[10:11], v[72:73], v[10:11]
	;; [unrolled: 2-line block ×3, first 2 shown]
	v_accvgpr_read_b32 v14, a98
	v_accvgpr_read_b32 v15, a107
	v_pk_add_f32 v[10:11], v[14:15], v[10:11]
	v_accvgpr_read_b32 v14, a102
	v_accvgpr_read_b32 v15, a113
	v_pk_add_f32 v[10:11], v[14:15], v[10:11]
	;; [unrolled: 3-line block ×3, first 2 shown]
	v_accvgpr_read_b32 v14, a112
	v_accvgpr_read_b32 v15, a121
	;; [unrolled: 1-line block ×3, first 2 shown]
	v_pk_add_f32 v[10:11], v[14:15], v[10:11]
	v_accvgpr_read_b32 v47, a147
	ds_write2_b64 v49, v[6:7], v[10:11] offset0:2 offset1:3
	v_pk_add_f32 v[6:7], v[42:43], v[12:13]
	v_accvgpr_read_b32 v62, a114
	v_accvgpr_read_b32 v63, a149
	v_pk_add_f32 v[6:7], v[46:47], v[6:7]
	v_accvgpr_read_b32 v110, a130
	v_accvgpr_read_b32 v111, a161
	v_pk_add_f32 v[6:7], v[62:63], v[6:7]
	v_accvgpr_read_b32 v10, a134
	v_pk_add_f32 v[6:7], v[110:111], v[6:7]
	;; [unrolled: 2-line block ×3, first 2 shown]
	v_accvgpr_read_b32 v10, a136
	v_accvgpr_read_b32 v11, a135
	v_pk_add_f32 v[6:7], v[10:11], v[6:7]
	v_accvgpr_read_b32 v10, a142
	v_accvgpr_read_b32 v11, a141
	;; [unrolled: 1-line block ×3, first 2 shown]
	v_pk_add_f32 v[6:7], v[10:11], v[6:7]
	v_accvgpr_read_b32 v10, a146
	v_accvgpr_read_b32 v11, a143
	;; [unrolled: 1-line block ×3, first 2 shown]
	v_pk_add_f32 v[6:7], v[10:11], v[6:7]
	v_pk_add_f32 v[10:11], v[38:39], v[12:13]
	v_accvgpr_read_b32 v104, a116
	v_accvgpr_read_b32 v105, a167
	v_pk_add_f32 v[10:11], v[40:41], v[10:11]
	v_accvgpr_read_b32 v106, a120
	v_accvgpr_read_b32 v107, a169
	v_pk_add_f32 v[10:11], v[104:105], v[10:11]
	v_accvgpr_read_b32 v108, a124
	v_accvgpr_read_b32 v109, a171
	v_pk_add_f32 v[10:11], v[106:107], v[10:11]
	v_accvgpr_read_b32 v14, a132
	v_pk_add_f32 v[10:11], v[108:109], v[10:11]
	v_accvgpr_read_b32 v15, a133
	;; [unrolled: 2-line block ×3, first 2 shown]
	v_accvgpr_read_b32 v15, a137
	v_pk_add_f32 v[10:11], v[14:15], v[10:11]
	v_accvgpr_read_b32 v14, a140
	v_accvgpr_read_b32 v15, a139
	;; [unrolled: 1-line block ×3, first 2 shown]
	v_pk_add_f32 v[10:11], v[14:15], v[10:11]
	v_accvgpr_read_b32 v37, a183
	ds_write2_b64 v49, v[6:7], v[10:11] offset0:4 offset1:5
	v_pk_add_f32 v[6:7], v[34:35], v[12:13]
	v_accvgpr_read_b32 v112, a144
	v_accvgpr_read_b32 v113, a185
	v_pk_add_f32 v[6:7], v[36:37], v[6:7]
	v_accvgpr_read_b32 v114, a148
	v_accvgpr_read_b32 v115, a187
	v_pk_add_f32 v[6:7], v[112:113], v[6:7]
	v_accvgpr_read_b32 v118, a150
	v_accvgpr_read_b32 v119, a189
	v_pk_add_f32 v[6:7], v[114:115], v[6:7]
	v_accvgpr_read_b32 v130, a160
	v_accvgpr_read_b32 v131, a201
	v_pk_add_f32 v[6:7], v[118:119], v[6:7]
	v_accvgpr_read_b32 v10, a168
	v_pk_add_f32 v[6:7], v[130:131], v[6:7]
	v_accvgpr_read_b32 v11, a151
	v_accvgpr_read_b32 v31, a193
	v_pk_add_f32 v[6:7], v[10:11], v[6:7]
	v_accvgpr_read_b32 v10, a172
	v_accvgpr_read_b32 v11, a155
	;; [unrolled: 1-line block ×3, first 2 shown]
	v_pk_add_f32 v[6:7], v[10:11], v[6:7]
	v_pk_add_f32 v[10:11], v[30:31], v[12:13]
	v_accvgpr_read_b32 v122, a152
	v_accvgpr_read_b32 v123, a199
	v_pk_add_f32 v[10:11], v[32:33], v[10:11]
	v_accvgpr_read_b32 v124, a154
	v_accvgpr_read_b32 v125, a203
	;; [unrolled: 3-line block ×5, first 2 shown]
	v_pk_add_f32 v[10:11], v[128:129], v[10:11]
	v_accvgpr_read_b32 v14, a170
	v_pk_add_f32 v[10:11], v[132:133], v[10:11]
	v_accvgpr_read_b32 v15, a153
	v_pk_mul_f32 v[64:65], v[90:91], s[22:23]
	v_pk_add_f32 v[10:11], v[14:15], v[10:11]
	v_pk_mul_f32 v[66:67], v[98:99], s[64:65]
	v_mov_b32_e32 v4, v97
	ds_write2_b64 v49, v[6:7], v[10:11] offset0:6 offset1:7
	v_pk_fma_f32 v[6:7], v[76:77], s[16:17], v[64:65] neg_lo:[1,0,0] neg_hi:[1,0,0]
	v_pk_fma_f32 v[10:11], v[76:77], s[16:17], v[64:65]
	v_pk_fma_f32 v[4:5], v[4:5], s[34:35], v[66:67] neg_lo:[1,0,0] neg_hi:[1,0,0]
	v_mov_b32_e32 v7, v11
	v_pk_fma_f32 v[14:15], v[78:79], s[34:35], v[66:67]
	v_pk_add_f32 v[6:7], v[6:7], v[12:13]
	v_mov_b32_e32 v5, v15
	v_pk_add_f32 v[4:5], v[4:5], v[6:7]
	s_mov_b32 s8, s25
	v_pk_mul_f32 v[6:7], v[86:87], s[36:37] op_sel_hi:[1,0]
	v_pk_mul_f32 v[8:9], v[8:9], s[30:31] op_sel_hi:[1,0]
	v_pk_fma_f32 v[16:17], v[92:93], s[8:9], v[6:7] op_sel:[0,0,1] op_sel_hi:[1,0,0] neg_lo:[0,0,1] neg_hi:[0,0,1]
	v_pk_fma_f32 v[6:7], v[92:93], s[8:9], v[6:7] op_sel:[0,0,1] op_sel_hi:[1,0,0]
	v_mov_b32_e32 v18, v16
	v_mov_b32_e32 v19, v7
	v_pk_add_f32 v[4:5], v[18:19], v[4:5]
	s_mov_b32 s8, s11
	v_pk_mul_f32 v[18:19], v[26:27], s[26:27] op_sel_hi:[1,0]
	v_pk_mul_f32 v[2:3], v[2:3], s[20:21] op_sel_hi:[1,0]
	v_pk_fma_f32 v[20:21], v[226:227], s[8:9], v[18:19] op_sel_hi:[1,0,1] neg_lo:[0,0,1] neg_hi:[0,0,1]
	v_pk_fma_f32 v[18:19], v[226:227], s[8:9], v[18:19] op_sel_hi:[1,0,1]
	v_mov_b32_e32 v22, v20
	v_mov_b32_e32 v23, v19
	v_pk_add_f32 v[4:5], v[22:23], v[4:5]
	s_mov_b32 s8, s19
	v_pk_mul_f32 v[22:23], v[28:29], s[18:19] op_sel_hi:[1,0]
	v_pk_mul_f32 v[0:1], v[0:1], s[40:41] op_sel_hi:[1,0]
	v_pk_fma_f32 v[24:25], v[116:117], s[8:9], v[22:23] op_sel_hi:[1,0,1] neg_lo:[0,0,1] neg_hi:[0,0,1]
	v_pk_fma_f32 v[22:23], v[116:117], s[8:9], v[22:23] op_sel_hi:[1,0,1]
	v_mov_b32_e32 v26, v24
	v_mov_b32_e32 v27, v23
	s_mov_b32 s8, s15
	v_pk_add_f32 v[4:5], v[26:27], v[4:5]
	v_pk_fma_f32 v[26:27], v[120:121], s[8:9], v[8:9] op_sel_hi:[1,0,1] neg_lo:[0,0,1] neg_hi:[0,0,1]
	v_pk_fma_f32 v[8:9], v[120:121], s[8:9], v[8:9] op_sel_hi:[1,0,1]
	v_mov_b32_e32 v28, v26
	v_mov_b32_e32 v29, v9
	s_mov_b32 s8, s21
	v_pk_add_f32 v[4:5], v[28:29], v[4:5]
	v_pk_fma_f32 v[28:29], v[136:137], s[8:9], v[2:3] op_sel_hi:[1,0,1] neg_lo:[0,0,1] neg_hi:[0,0,1]
	v_pk_fma_f32 v[2:3], v[136:137], s[8:9], v[2:3] op_sel_hi:[1,0,1]
	v_mov_b32_e32 v30, v28
	v_mov_b32_e32 v31, v3
	s_mov_b32 s8, s9
	v_pk_add_f32 v[4:5], v[30:31], v[4:5]
	v_pk_fma_f32 v[30:31], v[50:51], s[8:9], v[0:1] op_sel_hi:[1,0,1] neg_lo:[0,0,1] neg_hi:[0,0,1]
	v_pk_fma_f32 v[0:1], v[50:51], s[8:9], v[0:1] op_sel_hi:[1,0,1]
	v_mov_b32_e32 v32, v30
	v_mov_b32_e32 v33, v1
	v_pk_add_f32 v[4:5], v[32:33], v[4:5]
	v_pk_fma_f32 v[32:33], v[76:77], s[16:17], v[64:65] neg_lo:[0,0,1] neg_hi:[0,0,1]
	v_mov_b32_e32 v7, v17
	v_mov_b32_e32 v11, v33
	v_pk_add_f32 v[10:11], v[10:11], v[12:13]
	v_pk_fma_f32 v[12:13], v[78:79], s[34:35], v[66:67] neg_lo:[0,0,1] neg_hi:[0,0,1]
	v_mov_b32_e32 v19, v21
	v_mov_b32_e32 v15, v13
	v_pk_add_f32 v[10:11], v[14:15], v[10:11]
	v_mov_b32_e32 v23, v25
	v_pk_add_f32 v[6:7], v[6:7], v[10:11]
	;; [unrolled: 2-line block ×5, first 2 shown]
	s_nop 0
	v_pk_add_f32 v[2:3], v[2:3], v[6:7]
	s_nop 0
	v_pk_add_f32 v[0:1], v[0:1], v[2:3]
	ds_write2_b64 v49, v[4:5], v[0:1] offset0:8 offset1:9
	v_accvgpr_read_b32 v0, a48
	v_accvgpr_read_b32 v1, a49
	v_accvgpr_read_b32 v2, a50
	v_accvgpr_read_b32 v3, a51
	ds_write2_b64 v49, v[0:1], v[2:3] offset0:10 offset1:11
	v_accvgpr_read_b32 v0, a44
	v_accvgpr_read_b32 v1, a45
	v_accvgpr_read_b32 v2, a46
	v_accvgpr_read_b32 v3, a47
	ds_write2_b64 v49, v[0:1], v[2:3] offset0:12 offset1:13
	v_accvgpr_read_b32 v0, a40
	v_accvgpr_read_b32 v1, a41
	v_accvgpr_read_b32 v2, a42
	v_accvgpr_read_b32 v3, a43
	ds_write2_b64 v49, v[0:1], v[2:3] offset0:14 offset1:15
	ds_write_b64 v49, a[128:129] offset:128
.LBB0_7:
	s_or_b64 exec, exec, s[38:39]
	s_mov_b64 s[8:9], 0x66
	v_lshl_add_u64 v[116:117], v[82:83], 0, s[8:9]
	s_mov_b64 s[8:9], 0x99
	v_lshl_add_u64 v[122:123], v[82:83], 0, s[8:9]
	;; [unrolled: 2-line block ×7, first 2 shown]
	s_mov_b32 s9, 0xf0f1
	v_mul_u32_u24_sdwa v1, v124, s9 dst_sel:DWORD dst_unused:UNUSED_PAD src0_sel:WORD_0 src1_sel:DWORD
	v_lshrrev_b32_e32 v1, 20, v1
	v_mul_lo_u16_e32 v2, 17, v1
	v_sub_u16_e32 v2, v124, v2
	v_lshlrev_b16_e32 v3, 1, v2
	v_lshlrev_b32_e32 v3, 3, v3
	s_waitcnt lgkmcnt(0)
	; wave barrier
	s_waitcnt lgkmcnt(0)
	global_load_dwordx4 v[28:31], v3, s[0:1]
	v_mul_u32_u24_sdwa v5, v126, s9 dst_sel:DWORD dst_unused:UNUSED_PAD src0_sel:WORD_0 src1_sel:DWORD
	v_lshrrev_b32_e32 v5, 20, v5
	v_mul_u32_u24_sdwa v8, v128, s9 dst_sel:DWORD dst_unused:UNUSED_PAD src0_sel:WORD_0 src1_sel:DWORD
	v_mul_lo_u16_e32 v6, 17, v5
	v_lshrrev_b32_e32 v8, 20, v8
	v_sub_u16_e32 v6, v126, v6
	v_mul_lo_u16_e32 v9, 17, v8
	v_lshlrev_b16_e32 v7, 1, v6
	v_sub_u16_e32 v9, v128, v9
	v_lshlrev_b32_e32 v7, 3, v7
	v_lshlrev_b16_e32 v10, 1, v9
	v_lshlrev_b32_e32 v10, 3, v10
	global_load_dwordx4 v[36:39], v7, s[0:1]
	global_load_dwordx4 v[32:35], v10, s[0:1]
	s_movk_i32 s8, 0xf1
	v_mul_lo_u16_sdwa v0, v82, s8 dst_sel:DWORD dst_unused:UNUSED_PAD src0_sel:BYTE_0 src1_sel:DWORD
	v_lshrrev_b16_e32 v0, 12, v0
	v_mul_lo_u16_e32 v3, 17, v0
	v_mul_lo_u16_sdwa v7, v48, s8 dst_sel:DWORD dst_unused:UNUSED_PAD src0_sel:BYTE_0 src1_sel:DWORD
	v_sub_u16_e32 v3, v82, v3
	v_lshrrev_b16_e32 v7, 12, v7
	v_lshlrev_b16_e32 v4, 1, v3
	v_mul_lo_u16_e32 v10, 17, v7
	v_and_b32_e32 v4, 0xfe, v4
	v_sub_u16_e32 v10, v48, v10
	v_lshlrev_b32_e32 v4, 3, v4
	v_and_b32_e32 v10, 0xff, v10
	v_mul_lo_u16_sdwa v16, v118, s8 dst_sel:DWORD dst_unused:UNUSED_PAD src0_sel:BYTE_0 src1_sel:DWORD
	v_lshlrev_b32_e32 v11, 4, v10
	global_load_dwordx4 v[68:71], v4, s[0:1]
	global_load_dwordx4 v[74:77], v11, s[0:1]
	v_mul_lo_u16_sdwa v4, v116, s8 dst_sel:DWORD dst_unused:UNUSED_PAD src0_sel:BYTE_0 src1_sel:DWORD
	v_mul_lo_u16_sdwa v13, v122, s8 dst_sel:DWORD dst_unused:UNUSED_PAD src0_sel:BYTE_0 src1_sel:DWORD
	v_lshrrev_b16_e32 v16, 12, v16
	v_mul_u32_u24_sdwa v19, v120, s9 dst_sel:DWORD dst_unused:UNUSED_PAD src0_sel:WORD_0 src1_sel:DWORD
	v_lshrrev_b16_e32 v4, 12, v4
	v_lshrrev_b16_e32 v13, 12, v13
	v_mul_lo_u16_e32 v17, 17, v16
	v_lshrrev_b32_e32 v19, 20, v19
	v_mul_lo_u16_e32 v11, 17, v4
	v_mul_lo_u16_e32 v14, 17, v13
	v_sub_u16_e32 v17, v118, v17
	v_mul_lo_u16_e32 v20, 17, v19
	v_sub_u16_e32 v11, v116, v11
	v_sub_u16_e32 v14, v122, v14
	v_and_b32_e32 v17, 0xff, v17
	v_sub_u16_e32 v20, v120, v20
	v_and_b32_e32 v11, 0xff, v11
	v_and_b32_e32 v14, 0xff, v14
	v_lshlrev_b32_e32 v18, 4, v17
	v_lshlrev_b16_e32 v21, 1, v20
	v_lshlrev_b32_e32 v12, 4, v11
	v_lshlrev_b32_e32 v15, 4, v14
	;; [unrolled: 1-line block ×3, first 2 shown]
	global_load_dwordx4 v[40:43], v18, s[0:1]
	global_load_dwordx4 v[44:47], v21, s[0:1]
	;; [unrolled: 1-line block ×4, first 2 shown]
	v_mad_legacy_u16 v0, v0, 51, v3
	v_mov_b32_e32 v26, 3
	v_lshlrev_b32_sdwa v72, v26, v0 dst_sel:DWORD dst_unused:UNUSED_PAD src0_sel:DWORD src1_sel:BYTE_0
	v_mul_u32_u24_e32 v0, 51, v7
	v_add_lshl_u32 v67, v0, v10, 3
	v_mul_u32_u24_e32 v0, 51, v4
	v_add_lshl_u32 v66, v0, v11, 3
	;; [unrolled: 2-line block ×3, first 2 shown]
	v_mul_u32_u24_e32 v0, 51, v16
	v_add_u32_e32 v11, 0x1800, v168
	v_add_lshl_u32 v64, v0, v17, 3
	v_mad_legacy_u16 v0, v19, 51, v20
	ds_read2_b64 v[20:23], v11 offset0:48 offset1:99
	v_add_u32_e32 v13, 0x800, v168
	v_lshlrev_b32_e32 v63, 3, v0
	v_mad_legacy_u16 v0, v5, 51, v6
	ds_read2_b64 v[16:19], v13 offset0:152 offset1:203
	ds_read_b64 v[4:5], v168 offset:10608
	v_lshlrev_b32_e32 v49, 3, v0
	v_mad_legacy_u16 v0, v8, 51, v9
	v_lshlrev_b32_e32 v27, 3, v0
	v_mad_legacy_u16 v0, v1, 51, v2
	v_lshlrev_b32_e32 v12, 3, v0
	v_add_u32_e32 v14, 0x2000, v168
	s_mov_b32 s8, 0x3f5db3d7
	v_add_u32_e32 v15, 0x1000, v168
	s_waitcnt vmcnt(8) lgkmcnt(2)
	v_pk_mul_f32 v[2:3], v[22:23], v[28:29] op_sel:[0,1]
	v_accvgpr_write_b32 a63, v31
	v_pk_fma_f32 v[0:1], v[22:23], v[28:29], v[2:3] op_sel:[0,0,1] op_sel_hi:[1,1,0] neg_lo:[0,0,1] neg_hi:[0,0,1]
	v_pk_fma_f32 v[2:3], v[22:23], v[28:29], v[2:3] op_sel:[0,0,1] op_sel_hi:[1,0,0]
	ds_read2_b64 v[22:25], v14 offset0:200 offset1:251
	v_mov_b32_e32 v2, v31
	s_waitcnt lgkmcnt(1)
	v_pk_mul_f32 v[6:7], v[4:5], v[2:3] op_sel_hi:[1,0]
	v_mov_b32_e32 v1, v3
	v_pk_fma_f32 v[2:3], v[4:5], v[30:31], v[6:7] op_sel:[0,0,1] op_sel_hi:[1,1,0] neg_lo:[0,0,1] neg_hi:[0,0,1]
	v_pk_fma_f32 v[4:5], v[4:5], v[30:31], v[6:7] op_sel:[0,0,1] op_sel_hi:[1,0,0]
	v_accvgpr_write_b32 a62, v30
	v_mov_b32_e32 v3, v5
	v_pk_add_f32 v[4:5], v[0:1], v[2:3]
	v_accvgpr_write_b32 a61, v29
	v_pk_fma_f32 v[6:7], v[4:5], 0.5, v[16:17] op_sel_hi:[1,0,1] neg_lo:[1,0,0] neg_hi:[1,0,0]
	v_pk_add_f32 v[4:5], v[0:1], v[2:3] neg_lo:[0,1] neg_hi:[0,1]
	v_accvgpr_write_b32 a60, v28
	v_pk_mul_f32 v[8:9], v[4:5], s[8:9] op_sel_hi:[1,0]
	ds_read2_b64 v[28:31], v13 offset0:50 offset1:101
	v_pk_add_f32 v[4:5], v[6:7], v[8:9] op_sel:[0,1] op_sel_hi:[1,0] neg_lo:[0,1] neg_hi:[0,1]
	v_pk_add_f32 v[6:7], v[6:7], v[8:9] op_sel:[0,1] op_sel_hi:[1,0]
	s_waitcnt vmcnt(6)
	v_pk_mul_f32 v[8:9], v[20:21], v[32:33] op_sel:[0,1]
	v_accvgpr_write_b32 a115, v35
	v_pk_fma_f32 v[50:51], v[20:21], v[32:33], v[8:9] op_sel:[0,0,1] op_sel_hi:[1,1,0] neg_lo:[0,0,1] neg_hi:[0,0,1]
	v_pk_fma_f32 v[8:9], v[20:21], v[32:33], v[8:9] op_sel:[0,0,1] op_sel_hi:[1,0,0]
	v_accvgpr_write_b32 a114, v34
	v_mov_b32_e32 v8, v35
	v_mov_b32_e32 v51, v9
	s_waitcnt lgkmcnt(1)
	v_pk_mul_f32 v[8:9], v[24:25], v[8:9] op_sel_hi:[1,0]
	v_accvgpr_write_b32 a113, v33
	v_pk_fma_f32 v[52:53], v[24:25], v[34:35], v[8:9] op_sel:[0,0,1] op_sel_hi:[1,1,0] neg_lo:[0,0,1] neg_hi:[0,0,1]
	v_accvgpr_write_b32 a112, v32
	v_pk_fma_f32 v[8:9], v[24:25], v[34:35], v[8:9] op_sel:[0,0,1] op_sel_hi:[1,0,0]
	ds_read2_b64 v[32:35], v15 offset0:202 offset1:253
	v_mov_b32_e32 v53, v9
	v_pk_add_f32 v[8:9], v[50:51], v[52:53]
	v_pk_add_f32 v[20:21], v[50:51], v[52:53] neg_lo:[0,1] neg_hi:[0,1]
	s_waitcnt lgkmcnt(1)
	v_pk_fma_f32 v[8:9], v[8:9], 0.5, v[30:31] op_sel_hi:[1,0,1] neg_lo:[1,0,0] neg_hi:[1,0,0]
	v_pk_mul_f32 v[20:21], v[20:21], s[8:9] op_sel_hi:[1,0]
	v_mov_b32_e32 v10, v39
	v_pk_add_f32 v[54:55], v[8:9], v[20:21] op_sel:[0,1] op_sel_hi:[1,0] neg_lo:[0,1] neg_hi:[0,1]
	v_pk_add_f32 v[8:9], v[8:9], v[20:21] op_sel:[0,1] op_sel_hi:[1,0]
	s_waitcnt lgkmcnt(0)
	v_pk_mul_f32 v[20:21], v[34:35], v[36:37] op_sel:[0,1]
	v_accvgpr_write_b32 a107, v39
	v_pk_fma_f32 v[56:57], v[34:35], v[36:37], v[20:21] op_sel:[0,0,1] op_sel_hi:[1,1,0] neg_lo:[0,0,1] neg_hi:[0,0,1]
	v_pk_fma_f32 v[20:21], v[34:35], v[36:37], v[20:21] op_sel:[0,0,1] op_sel_hi:[1,0,0]
	v_accvgpr_write_b32 a106, v38
	v_mov_b32_e32 v57, v21
	v_pk_mul_f32 v[20:21], v[22:23], v[10:11] op_sel_hi:[1,0]
	v_accvgpr_write_b32 a105, v37
	v_pk_fma_f32 v[58:59], v[22:23], v[38:39], v[20:21] op_sel:[0,0,1] op_sel_hi:[1,1,0] neg_lo:[0,0,1] neg_hi:[0,0,1]
	v_pk_fma_f32 v[20:21], v[22:23], v[38:39], v[20:21] op_sel:[0,0,1] op_sel_hi:[1,0,0]
	v_accvgpr_write_b32 a104, v36
	v_mov_b32_e32 v59, v21
	v_pk_add_f32 v[20:21], v[56:57], v[58:59]
	v_pk_add_f32 v[22:23], v[56:57], v[58:59] neg_lo:[0,1] neg_hi:[0,1]
	v_pk_fma_f32 v[20:21], v[20:21], 0.5, v[28:29] op_sel_hi:[1,0,1] neg_lo:[1,0,0] neg_hi:[1,0,0]
	v_pk_mul_f32 v[22:23], v[22:23], s[8:9] op_sel_hi:[1,0]
	s_waitcnt vmcnt(2)
	v_pk_mul_f32 v[24:25], v[32:33], v[44:45] op_sel:[0,1]
	v_pk_add_f32 v[60:61], v[20:21], v[22:23] op_sel:[0,1] op_sel_hi:[1,0] neg_lo:[0,1] neg_hi:[0,1]
	v_pk_add_f32 v[80:81], v[20:21], v[22:23] op_sel:[0,1] op_sel_hi:[1,0]
	ds_read2_b64 v[20:23], v168 offset0:204 offset1:255
	ds_read2_b64 v[34:37], v14 offset0:98 offset1:149
	v_mov_b32_e32 v62, v82
	v_pk_fma_f32 v[82:83], v[32:33], v[44:45], v[24:25] op_sel:[0,0,1] op_sel_hi:[1,1,0] neg_lo:[0,0,1] neg_hi:[0,0,1]
	v_pk_fma_f32 v[24:25], v[32:33], v[44:45], v[24:25] op_sel:[0,0,1] op_sel_hi:[1,0,0]
	v_mov_b32_e32 v10, v47
	v_mov_b32_e32 v83, v25
	s_waitcnt lgkmcnt(0)
	v_pk_mul_f32 v[24:25], v[36:37], v[10:11] op_sel_hi:[1,0]
	v_mov_b32_e32 v10, v43
	v_pk_fma_f32 v[84:85], v[36:37], v[46:47], v[24:25] op_sel:[0,0,1] op_sel_hi:[1,1,0] neg_lo:[0,0,1] neg_hi:[0,0,1]
	v_pk_fma_f32 v[24:25], v[36:37], v[46:47], v[24:25] op_sel:[0,0,1] op_sel_hi:[1,0,0]
	ds_read2_b64 v[36:39], v15 offset0:100 offset1:151
	v_mov_b32_e32 v85, v25
	v_pk_add_f32 v[24:25], v[82:83], v[84:85]
	v_pk_add_f32 v[32:33], v[82:83], v[84:85] neg_lo:[0,1] neg_hi:[0,1]
	v_pk_fma_f32 v[24:25], v[24:25], 0.5, v[22:23] op_sel_hi:[1,0,1] neg_lo:[1,0,0] neg_hi:[1,0,0]
	v_pk_mul_f32 v[32:33], v[32:33], s[8:9] op_sel_hi:[1,0]
	v_accvgpr_write_b32 a103, v43
	v_pk_add_f32 v[86:87], v[24:25], v[32:33] op_sel:[0,1] op_sel_hi:[1,0] neg_lo:[0,1] neg_hi:[0,1]
	v_pk_add_f32 v[88:89], v[24:25], v[32:33] op_sel:[0,1] op_sel_hi:[1,0]
	s_waitcnt lgkmcnt(0)
	v_pk_mul_f32 v[24:25], v[38:39], v[40:41] op_sel:[0,1]
	v_accvgpr_write_b32 a102, v42
	v_pk_fma_f32 v[90:91], v[38:39], v[40:41], v[24:25] op_sel:[0,0,1] op_sel_hi:[1,1,0] neg_lo:[0,0,1] neg_hi:[0,0,1]
	v_pk_fma_f32 v[24:25], v[38:39], v[40:41], v[24:25] op_sel:[0,0,1] op_sel_hi:[1,0,0]
	v_accvgpr_write_b32 a101, v41
	v_mov_b32_e32 v91, v25
	v_pk_mul_f32 v[24:25], v[34:35], v[10:11] op_sel_hi:[1,0]
	v_accvgpr_write_b32 a100, v40
	v_pk_fma_f32 v[92:93], v[34:35], v[42:43], v[24:25] op_sel:[0,0,1] op_sel_hi:[1,1,0] neg_lo:[0,0,1] neg_hi:[0,0,1]
	v_pk_fma_f32 v[24:25], v[34:35], v[42:43], v[24:25] op_sel:[0,0,1] op_sel_hi:[1,0,0]
	v_accvgpr_write_b32 a111, v47
	v_mov_b32_e32 v93, v25
	v_pk_add_f32 v[24:25], v[20:21], v[90:91]
	ds_read2_b64 v[32:35], v168 offset0:102 offset1:153
	v_pk_add_f32 v[94:95], v[24:25], v[92:93]
	v_add_u32_e32 v24, 0x1c00, v168
	ds_read2_b64 v[38:41], v24 offset0:124 offset1:175
	s_waitcnt vmcnt(0)
	v_pk_mul_f32 v[42:43], v[36:37], v[100:101] op_sel:[0,1]
	v_add_u32_e32 v25, 0xc00, v168
	v_accvgpr_write_b32 a110, v46
	v_accvgpr_write_b32 a109, v45
	;; [unrolled: 1-line block ×3, first 2 shown]
	v_pk_fma_f32 v[96:97], v[36:37], v[100:101], v[42:43] op_sel:[0,0,1] op_sel_hi:[1,1,0] neg_lo:[0,0,1] neg_hi:[0,0,1]
	v_pk_fma_f32 v[36:37], v[36:37], v[100:101], v[42:43] op_sel:[0,0,1] op_sel_hi:[1,0,0]
	ds_read2_b64 v[42:45], v25 offset0:126 offset1:177
	v_mov_b32_e32 v10, v103
	v_mov_b32_e32 v97, v37
	s_waitcnt lgkmcnt(1)
	v_pk_mul_f32 v[36:37], v[40:41], v[10:11] op_sel_hi:[1,0]
	v_accvgpr_write_b32 a94, v100
	v_pk_fma_f32 v[98:99], v[40:41], v[102:103], v[36:37] op_sel:[0,0,1] op_sel_hi:[1,1,0] neg_lo:[0,0,1] neg_hi:[0,0,1]
	v_pk_fma_f32 v[36:37], v[40:41], v[102:103], v[36:37] op_sel:[0,0,1] op_sel_hi:[1,0,0]
	v_accvgpr_write_b32 a95, v101
	v_mov_b32_e32 v99, v37
	v_pk_add_f32 v[36:37], v[34:35], v[96:97]
	v_accvgpr_write_b32 a96, v102
	v_pk_add_f32 v[40:41], v[36:37], v[98:99]
	s_waitcnt lgkmcnt(0)
	v_pk_mul_f32 v[36:37], v[44:45], v[104:105] op_sel:[0,1]
	v_accvgpr_write_b32 a97, v103
	v_pk_fma_f32 v[100:101], v[44:45], v[104:105], v[36:37] op_sel:[0,0,1] op_sel_hi:[1,1,0] neg_lo:[0,0,1] neg_hi:[0,0,1]
	v_pk_fma_f32 v[36:37], v[44:45], v[104:105], v[36:37] op_sel:[0,0,1] op_sel_hi:[1,0,0]
	v_mov_b32_e32 v10, v107
	v_mov_b32_e32 v101, v37
	v_pk_mul_f32 v[36:37], v[38:39], v[10:11] op_sel_hi:[1,0]
	v_accvgpr_write_b32 a88, v104
	v_pk_fma_f32 v[102:103], v[38:39], v[106:107], v[36:37] op_sel:[0,0,1] op_sel_hi:[1,1,0] neg_lo:[0,0,1] neg_hi:[0,0,1]
	v_pk_fma_f32 v[36:37], v[38:39], v[106:107], v[36:37] op_sel:[0,0,1] op_sel_hi:[1,0,0]
	v_accvgpr_write_b32 a89, v105
	v_mov_b32_e32 v103, v37
	v_pk_add_f32 v[36:37], v[32:33], v[100:101]
	v_accvgpr_write_b32 a90, v106
	v_accvgpr_write_b32 a91, v107
	v_pk_add_f32 v[104:105], v[36:37], v[102:103]
	ds_read2_b64 v[36:39], v168 offset1:51
	ds_read2_b64 v[44:47], v11 offset0:150 offset1:201
	v_pk_mul_f32 v[106:107], v[42:43], v[74:75] op_sel:[0,1]
	v_mov_b32_e32 v10, v77
	v_pk_fma_f32 v[108:109], v[42:43], v[74:75], v[106:107] op_sel:[0,0,1] op_sel_hi:[1,1,0] neg_lo:[0,0,1] neg_hi:[0,0,1]
	v_pk_fma_f32 v[42:43], v[42:43], v[74:75], v[106:107] op_sel:[0,0,1] op_sel_hi:[1,0,0]
	s_waitcnt lgkmcnt(0)
	v_mov_b32_e32 v109, v43
	v_pk_mul_f32 v[42:43], v[46:47], v[10:11] op_sel_hi:[1,0]
	v_mov_b32_e32 v10, v71
	v_pk_fma_f32 v[106:107], v[46:47], v[76:77], v[42:43] op_sel:[0,0,1] op_sel_hi:[1,1,0] neg_lo:[0,0,1] neg_hi:[0,0,1]
	v_pk_fma_f32 v[42:43], v[46:47], v[76:77], v[42:43] op_sel:[0,0,1] op_sel_hi:[1,0,0]
	v_pk_mul_f32 v[46:47], v[18:19], v[68:69] op_sel:[0,1]
	v_mov_b32_e32 v107, v43
	v_pk_fma_f32 v[110:111], v[18:19], v[68:69], v[46:47] op_sel:[0,0,1] op_sel_hi:[1,1,0] neg_lo:[0,0,1] neg_hi:[0,0,1]
	v_pk_fma_f32 v[18:19], v[18:19], v[68:69], v[46:47] op_sel:[0,0,1] op_sel_hi:[1,0,0]
	; wave barrier
	s_nop 0
	v_mov_b32_e32 v111, v19
	v_pk_mul_f32 v[18:19], v[44:45], v[10:11] op_sel_hi:[1,0]
	v_pk_add_f32 v[42:43], v[38:39], v[108:109]
	v_pk_fma_f32 v[46:47], v[44:45], v[70:71], v[18:19] op_sel:[0,0,1] op_sel_hi:[1,1,0] neg_lo:[0,0,1] neg_hi:[0,0,1]
	v_pk_fma_f32 v[18:19], v[44:45], v[70:71], v[18:19] op_sel:[0,0,1] op_sel_hi:[1,0,0]
	v_pk_add_f32 v[42:43], v[42:43], v[106:107]
	v_mov_b32_e32 v47, v19
	v_pk_add_f32 v[44:45], v[110:111], v[46:47]
	v_pk_add_f32 v[18:19], v[36:37], v[110:111]
	v_pk_fma_f32 v[36:37], v[44:45], 0.5, v[36:37] op_sel_hi:[1,0,1] neg_lo:[1,0,0] neg_hi:[1,0,0]
	v_pk_add_f32 v[44:45], v[110:111], v[46:47] neg_lo:[0,1] neg_hi:[0,1]
	v_pk_add_f32 v[18:19], v[18:19], v[46:47]
	v_pk_mul_f32 v[44:45], v[44:45], s[8:9] op_sel_hi:[1,0]
	v_pk_add_f32 v[0:1], v[16:17], v[0:1]
	v_pk_add_f32 v[46:47], v[36:37], v[44:45] op_sel:[0,1] op_sel_hi:[1,0]
	v_pk_add_f32 v[36:37], v[36:37], v[44:45] op_sel:[0,1] op_sel_hi:[1,0] neg_lo:[0,1] neg_hi:[0,1]
	v_mov_b32_e32 v44, v46
	v_mov_b32_e32 v45, v37
	;; [unrolled: 1-line block ×3, first 2 shown]
	ds_write2_b64 v72, v[18:19], v[44:45] offset1:17
	ds_write_b64 v72, v[36:37] offset:272
	v_pk_add_f32 v[18:19], v[108:109], v[106:107]
	v_pk_add_f32 v[36:37], v[108:109], v[106:107] neg_lo:[0,1] neg_hi:[0,1]
	v_pk_fma_f32 v[18:19], v[18:19], 0.5, v[38:39] op_sel_hi:[1,0,1] neg_lo:[1,0,0] neg_hi:[1,0,0]
	v_pk_mul_f32 v[36:37], v[36:37], s[8:9] op_sel_hi:[1,0]
	v_pk_add_f32 v[0:1], v[0:1], v[2:3]
	v_pk_add_f32 v[38:39], v[18:19], v[36:37] op_sel:[0,1] op_sel_hi:[1,0]
	v_pk_add_f32 v[18:19], v[18:19], v[36:37] op_sel:[0,1] op_sel_hi:[1,0] neg_lo:[0,1] neg_hi:[0,1]
	v_mov_b32_e32 v36, v38
	v_mov_b32_e32 v37, v19
	;; [unrolled: 1-line block ×3, first 2 shown]
	ds_write_b64 v67, v[18:19] offset:272
	v_pk_add_f32 v[18:19], v[100:101], v[102:103]
	ds_write2_b64 v67, v[42:43], v[36:37] offset1:17
	v_pk_fma_f32 v[18:19], v[18:19], 0.5, v[32:33] op_sel_hi:[1,0,1] neg_lo:[1,0,0] neg_hi:[1,0,0]
	v_pk_add_f32 v[32:33], v[100:101], v[102:103] neg_lo:[0,1] neg_hi:[0,1]
	v_mov_b32_e32 v2, v6
	v_pk_mul_f32 v[32:33], v[32:33], s[8:9] op_sel_hi:[1,0]
	v_mov_b32_e32 v3, v5
	v_pk_add_f32 v[36:37], v[18:19], v[32:33] op_sel:[0,1] op_sel_hi:[1,0]
	v_pk_add_f32 v[18:19], v[18:19], v[32:33] op_sel:[0,1] op_sel_hi:[1,0] neg_lo:[0,1] neg_hi:[0,1]
	v_mov_b32_e32 v32, v36
	v_mov_b32_e32 v33, v19
	;; [unrolled: 1-line block ×3, first 2 shown]
	ds_write2_b64 v66, v[104:105], v[32:33] offset1:17
	ds_write_b64 v66, v[18:19] offset:272
	v_pk_add_f32 v[18:19], v[96:97], v[98:99]
	v_pk_add_f32 v[32:33], v[96:97], v[98:99] neg_lo:[0,1] neg_hi:[0,1]
	v_pk_fma_f32 v[18:19], v[18:19], 0.5, v[34:35] op_sel_hi:[1,0,1] neg_lo:[1,0,0] neg_hi:[1,0,0]
	v_pk_mul_f32 v[32:33], v[32:33], s[8:9] op_sel_hi:[1,0]
	v_mov_b32_e32 v5, v7
	v_pk_add_f32 v[34:35], v[18:19], v[32:33] op_sel:[0,1] op_sel_hi:[1,0]
	v_pk_add_f32 v[18:19], v[18:19], v[32:33] op_sel:[0,1] op_sel_hi:[1,0] neg_lo:[0,1] neg_hi:[0,1]
	v_mov_b32_e32 v32, v34
	v_mov_b32_e32 v33, v19
	;; [unrolled: 1-line block ×3, first 2 shown]
	ds_write_b64 v65, v[18:19] offset:272
	v_pk_add_f32 v[18:19], v[90:91], v[92:93]
	ds_write2_b64 v65, v[40:41], v[32:33] offset1:17
	v_pk_fma_f32 v[18:19], v[18:19], 0.5, v[20:21] op_sel_hi:[1,0,1] neg_lo:[1,0,0] neg_hi:[1,0,0]
	v_pk_add_f32 v[20:21], v[90:91], v[92:93] neg_lo:[0,1] neg_hi:[0,1]
	v_accvgpr_write_b32 a68, v74
	v_pk_mul_f32 v[20:21], v[20:21], s[8:9] op_sel_hi:[1,0]
	s_movk_i32 s9, 0xa1
	v_pk_add_f32 v[32:33], v[18:19], v[20:21] op_sel:[0,1] op_sel_hi:[1,0]
	v_pk_add_f32 v[18:19], v[18:19], v[20:21] op_sel:[0,1] op_sel_hi:[1,0] neg_lo:[0,1] neg_hi:[0,1]
	v_mov_b32_e32 v20, v32
	v_mov_b32_e32 v21, v19
	;; [unrolled: 1-line block ×3, first 2 shown]
	ds_write_b64 v64, v[18:19] offset:272
	v_pk_add_f32 v[18:19], v[22:23], v[82:83]
	ds_write2_b64 v64, v[94:95], v[20:21] offset1:17
	v_pk_add_f32 v[18:19], v[18:19], v[84:85]
	v_mov_b32_e32 v20, v88
	v_mov_b32_e32 v21, v87
	ds_write2_b64 v63, v[18:19], v[20:21] offset1:17
	v_pk_add_f32 v[18:19], v[28:29], v[56:57]
	v_mov_b32_e32 v87, v89
	v_pk_add_f32 v[18:19], v[18:19], v[58:59]
	v_mov_b32_e32 v20, v80
	v_mov_b32_e32 v21, v61
	ds_write_b64 v63, v[86:87] offset:272
	ds_write2_b64 v49, v[18:19], v[20:21] offset1:17
	v_pk_add_f32 v[18:19], v[30:31], v[50:51]
	v_mov_b32_e32 v61, v81
	v_pk_add_f32 v[18:19], v[18:19], v[52:53]
	v_mov_b32_e32 v20, v8
	v_mov_b32_e32 v21, v55
	;; [unrolled: 1-line block ×3, first 2 shown]
	ds_write_b64 v49, v[60:61] offset:272
	ds_write2_b64 v27, v[18:19], v[20:21] offset1:17
	ds_write_b64 v27, v[54:55] offset:272
	ds_write2_b64 v12, v[0:1], v[2:3] offset1:17
	v_mul_lo_u16_sdwa v0, v116, s9 dst_sel:DWORD dst_unused:UNUSED_PAD src0_sel:BYTE_0 src1_sel:DWORD
	v_lshrrev_b16_e32 v0, 13, v0
	v_mul_lo_u16_e32 v0, 51, v0
	ds_write_b64 v12, v[4:5] offset:272
	v_sub_u16_e32 v5, v116, v0
	v_mov_b32_e32 v0, 6
	v_accvgpr_write_b32 a64, v68
	v_lshlrev_b32_sdwa v0, v0, v5 dst_sel:DWORD dst_unused:UNUSED_PAD src0_sel:DWORD src1_sel:BYTE_0
	v_accvgpr_write_b32 a69, v75
	v_accvgpr_write_b32 a70, v76
	v_accvgpr_write_b32 a71, v77
	v_accvgpr_write_b32 a65, v69
	v_accvgpr_write_b32 a66, v70
	v_accvgpr_write_b32 a67, v71
	v_accvgpr_write_b32 a57, v67
	v_accvgpr_write_b32 a56, v66
	v_accvgpr_write_b32 a55, v65
	v_accvgpr_write_b32 a54, v64
	s_waitcnt lgkmcnt(0)
	; wave barrier
	s_waitcnt lgkmcnt(0)
	global_load_dwordx4 v[64:67], v0, s[0:1] offset:320
	global_load_dwordx4 v[148:151], v0, s[0:1] offset:272
	;; [unrolled: 1-line block ×4, first 2 shown]
	v_lshlrev_b32_e32 v0, 6, v62
	global_load_dwordx4 v[32:35], v0, s[0:1] offset:272
	global_load_dwordx4 v[28:31], v0, s[0:1] offset:288
	;; [unrolled: 1-line block ×4, first 2 shown]
	ds_read2_b64 v[92:95], v168 offset0:204 offset1:255
	ds_read2_b64 v[36:39], v13 offset0:152 offset1:203
	;; [unrolled: 1-line block ×3, first 2 shown]
	ds_read_b64 v[8:9], v168 offset:10608
	ds_read2_b64 v[96:99], v25 offset0:126 offset1:177
	ds_read2_b64 v[40:43], v24 offset0:124 offset1:175
	v_accvgpr_write_b32 a21, v12
	s_mov_b32 s22, 0x3f248dbb
	s_mov_b32 s23, 0x3f7c1c5c
	s_mov_b32 s26, s23
	s_mov_b32 s27, s22
	s_mov_b32 s20, s23
	s_mov_b32 s10, 0x3eaf1d44
	s_mov_b32 s24, 0xbf248dbb
	s_mov_b32 s14, 0x3f441b7d
	s_mov_b32 s16, 0x3e31d0d4
	s_mov_b32 s18, 0x3f708fb2
	v_accvgpr_write_b32 a52, v49
	v_lshlrev_b32_sdwa v49, v26, v5 dst_sel:DWORD dst_unused:UNUSED_PAD src0_sel:DWORD src1_sel:BYTE_0
	v_accvgpr_write_b32 a29, v27
	v_accvgpr_write_b32 a59, v72
	;; [unrolled: 1-line block ×4, first 2 shown]
	s_waitcnt vmcnt(7)
	v_mov_b32_e32 v78, v65
	s_waitcnt vmcnt(6)
	v_mov_b32_e32 v154, v149
	s_waitcnt vmcnt(5) lgkmcnt(1)
	v_pk_mul_f32 v[0:1], v[98:99], v[74:75]
	s_waitcnt vmcnt(3)
	v_mov_b32_e32 v4, v35
	v_mov_b32_e32 v0, v1
	v_pk_fma_f32 v[2:3], v[98:99], v[74:75], v[0:1] neg_lo:[0,0,1] neg_hi:[0,0,1]
	v_mov_b32_e32 v1, v74
	v_pk_mul_f32 v[50:51], v[98:99], v[0:1]
	v_mov_b32_e32 v1, v98
	v_pk_mul_f32 v[52:53], v[0:1], v[74:75]
	s_waitcnt lgkmcnt(0)
	v_pk_mul_f32 v[0:1], v[40:41], v[70:71]
	ds_read2_b64 v[84:87], v168 offset1:51
	ds_read2_b64 v[80:83], v168 offset0:102 offset1:153
	ds_read2_b64 v[110:113], v13 offset0:50 offset1:101
	;; [unrolled: 1-line block ×6, first 2 shown]
	v_mov_b32_e32 v0, v1
	v_pk_fma_f32 v[6:7], v[40:41], v[70:71], v[0:1] neg_lo:[0,0,1] neg_hi:[0,0,1]
	v_mov_b32_e32 v1, v70
	v_pk_mul_f32 v[54:55], v[40:41], v[0:1]
	v_mov_b32_e32 v1, v40
	v_pk_mul_f32 v[56:57], v[0:1], v[70:71]
	s_waitcnt lgkmcnt(5)
	v_pk_mul_f32 v[0:1], v[82:83], v[32:33] op_sel:[0,1]
	s_waitcnt lgkmcnt(4)
	v_pk_mul_f32 v[58:59], v[110:111], v[4:5] op_sel_hi:[1,0]
	v_pk_fma_f32 v[40:41], v[82:83], v[32:33], v[0:1] op_sel:[0,0,1] op_sel_hi:[1,1,0] neg_lo:[0,0,1] neg_hi:[0,0,1]
	v_pk_fma_f32 v[0:1], v[82:83], v[32:33], v[0:1] op_sel:[0,0,1] op_sel_hi:[1,0,0]
	s_waitcnt vmcnt(2)
	v_pk_mul_f32 v[82:83], v[38:39], v[28:29] op_sel:[0,1]
	v_pk_fma_f32 v[60:61], v[110:111], v[34:35], v[58:59] op_sel:[0,0,1] op_sel_hi:[1,1,0] neg_lo:[0,0,1] neg_hi:[0,0,1]
	v_pk_fma_f32 v[58:59], v[110:111], v[34:35], v[58:59] op_sel:[0,0,1] op_sel_hi:[1,0,0]
	v_pk_fma_f32 v[110:111], v[38:39], v[28:29], v[82:83] op_sel:[0,0,1] op_sel_hi:[1,1,0] neg_lo:[0,0,1] neg_hi:[0,0,1]
	v_pk_fma_f32 v[38:39], v[38:39], v[28:29], v[82:83] op_sel:[0,0,1] op_sel_hi:[1,0,0]
	v_mov_b32_e32 v10, v31
	v_mov_b32_e32 v111, v39
	s_waitcnt lgkmcnt(3)
	v_pk_mul_f32 v[38:39], v[106:107], v[10:11] op_sel_hi:[1,0]
	s_waitcnt vmcnt(1)
	v_mov_b32_e32 v12, v23
	v_pk_fma_f32 v[82:83], v[106:107], v[30:31], v[38:39] op_sel:[0,0,1] op_sel_hi:[1,1,0] neg_lo:[0,0,1] neg_hi:[0,0,1]
	v_pk_fma_f32 v[38:39], v[106:107], v[30:31], v[38:39] op_sel:[0,0,1] op_sel_hi:[1,0,0]
	v_mov_b32_e32 v61, v59
	v_mov_b32_e32 v83, v39
	s_waitcnt lgkmcnt(2)
	v_pk_mul_f32 v[38:39], v[46:47], v[20:21] op_sel:[0,1]
	v_mov_b32_e32 v41, v1
	v_pk_fma_f32 v[106:107], v[46:47], v[20:21], v[38:39] op_sel:[0,0,1] op_sel_hi:[1,1,0] neg_lo:[0,0,1] neg_hi:[0,0,1]
	v_pk_fma_f32 v[38:39], v[46:47], v[20:21], v[38:39] op_sel:[0,0,1] op_sel_hi:[1,0,0]
	v_mov_b32_e32 v0, v1
	v_mov_b32_e32 v107, v39
	s_waitcnt lgkmcnt(1)
	v_pk_mul_f32 v[38:39], v[102:103], v[12:13] op_sel_hi:[1,0]
	v_mov_b32_e32 v1, v60
	v_pk_fma_f32 v[46:47], v[102:103], v[22:23], v[38:39] op_sel:[0,0,1] op_sel_hi:[1,1,0] neg_lo:[0,0,1] neg_hi:[0,0,1]
	v_pk_fma_f32 v[38:39], v[102:103], v[22:23], v[38:39] op_sel:[0,0,1] op_sel_hi:[1,0,0]
	v_mov_b32_e32 v26, v77
	v_mov_b32_e32 v47, v39
	s_waitcnt vmcnt(0)
	v_pk_mul_f32 v[38:39], v[42:43], v[16:17] op_sel:[0,1]
	v_pk_add_f32 v[134:135], v[110:111], v[46:47]
	v_pk_fma_f32 v[102:103], v[42:43], v[16:17], v[38:39] op_sel:[0,0,1] op_sel_hi:[1,1,0] neg_lo:[0,0,1] neg_hi:[0,0,1]
	v_pk_fma_f32 v[38:39], v[42:43], v[16:17], v[38:39] op_sel:[0,0,1] op_sel_hi:[1,0,0]
	v_mov_b32_e32 v42, v19
	s_waitcnt lgkmcnt(0)
	v_pk_mul_f32 v[114:115], v[98:99], v[42:43] op_sel_hi:[1,0]
	v_mov_b32_e32 v103, v39
	v_pk_fma_f32 v[130:131], v[98:99], v[18:19], v[114:115] op_sel:[0,0,1] op_sel_hi:[1,1,0] neg_lo:[0,0,1] neg_hi:[0,0,1]
	v_pk_fma_f32 v[98:99], v[98:99], v[18:19], v[114:115] op_sel:[0,0,1] op_sel_hi:[1,0,0]
	v_pk_add_f32 v[132:133], v[60:61], v[102:103]
	v_mov_b32_e32 v60, v99
	v_mov_b32_e32 v61, v102
	v_pk_add_f32 v[60:61], v[0:1], v[60:61] neg_lo:[0,1] neg_hi:[0,1]
	v_mov_b32_e32 v0, v59
	v_mov_b32_e32 v1, v40
	;; [unrolled: 1-line block ×5, first 2 shown]
	v_pk_add_f32 v[38:39], v[0:1], v[38:39] neg_lo:[0,1] neg_hi:[0,1]
	v_pk_add_f32 v[0:1], v[110:111], v[46:47] neg_lo:[0,1] neg_hi:[0,1]
	v_pk_add_f32 v[114:115], v[40:41], v[130:131]
	v_pk_mul_f32 v[40:41], v[0:1], s[8:9] op_sel_hi:[1,0]
	v_pk_mul_f32 v[0:1], v[38:39], s[26:27]
	v_pk_add_f32 v[46:47], v[82:83], v[106:107] neg_lo:[0,1] neg_hi:[0,1]
	v_pk_fma_f32 v[0:1], v[60:61], s[22:23], v[0:1]
	v_pk_mul_f32 v[110:111], v[46:47], s[22:23] op_sel:[1,0] op_sel_hi:[0,0]
	v_mov_b32_e32 v130, v60
	v_mov_b32_e32 v131, v39
	v_pk_add_f32 v[0:1], v[40:41], v[0:1] op_sel:[1,0] op_sel_hi:[0,1]
	v_pk_fma_f32 v[110:111], v[130:131], s[20:21], v[110:111] op_sel_hi:[1,0,1] neg_lo:[0,0,1] neg_hi:[0,0,1]
	v_pk_fma_f32 v[0:1], v[46:47], s[10:11], v[0:1] op_sel:[1,0,0] op_sel_hi:[0,0,1]
	v_pk_add_f32 v[98:99], v[82:83], v[106:107]
	v_pk_add_f32 v[110:111], v[110:111], v[40:41] op_sel:[0,1] op_sel_hi:[1,0] neg_lo:[0,1] neg_hi:[0,1]
	v_mov_b32_e32 v39, v61
	v_pk_add_f32 v[138:139], v[46:47], v[130:131] op_sel:[1,0] op_sel_hi:[0,1]
	v_pk_add_f32 v[144:145], v[132:133], v[114:115]
	v_pk_mul_f32 v[46:47], v[46:47], s[20:21] op_sel:[1,0] op_sel_hi:[0,0]
	v_pk_fma_f32 v[60:61], v[38:39], s[10:11], v[110:111] op_sel_hi:[1,0,1]
	v_pk_add_f32 v[138:139], v[138:139], v[38:39] neg_lo:[0,1] neg_hi:[0,1]
	v_pk_add_f32 v[142:143], v[134:135], v[84:85]
	v_pk_add_f32 v[146:147], v[98:99], v[144:145]
	v_pk_fma_f32 v[38:39], v[38:39], s[24:25], v[46:47] op_sel_hi:[1,0,1] neg_lo:[0,0,1] neg_hi:[0,0,1]
	v_pk_fma_f32 v[142:143], v[146:147], 0.5, v[142:143] op_sel_hi:[1,0,1] neg_lo:[1,0,0] neg_hi:[1,0,0]
	v_pk_add_f32 v[38:39], v[40:41], v[38:39] op_sel:[1,0] op_sel_hi:[0,1]
	v_pk_fma_f32 v[40:41], v[132:133], s[14:15], v[84:85] op_sel_hi:[1,0,1]
	v_pk_mul_f32 v[140:141], v[138:139], s[8:9] op_sel_hi:[1,0]
	v_pk_fma_f32 v[146:147], v[138:139], s[8:9], v[142:143] op_sel_hi:[1,0,1]
	v_pk_fma_f32 v[138:139], v[138:139], s[8:9], v[142:143] op_sel_hi:[1,0,1] neg_lo:[1,0,0] neg_hi:[1,0,0]
	v_pk_add_f32 v[142:143], v[134:135], v[144:145]
	v_pk_fma_f32 v[40:41], v[98:99], s[16:17], v[40:41] op_sel_hi:[1,0,1]
	v_pk_fma_f32 v[58:59], v[114:115], s[14:15], v[84:85] op_sel_hi:[1,0,1]
	v_pk_add_f32 v[82:83], v[82:83], v[142:143]
	v_pk_fma_f32 v[40:41], v[134:135], 0.5, v[40:41] op_sel_hi:[1,0,1] neg_lo:[1,0,0] neg_hi:[1,0,0]
	v_pk_fma_f32 v[58:59], v[132:133], s[16:17], v[58:59] op_sel_hi:[1,0,1]
	v_pk_add_f32 v[82:83], v[106:107], v[82:83]
	v_pk_fma_f32 v[38:39], v[130:131], s[10:11], v[38:39] op_sel_hi:[1,0,1]
	v_pk_fma_f32 v[40:41], v[114:115], s[18:19], v[40:41] op_sel_hi:[1,0,1] neg_lo:[1,0,0] neg_hi:[1,0,0]
	v_pk_fma_f32 v[58:59], v[134:135], 0.5, v[58:59] op_sel_hi:[1,0,1] neg_lo:[1,0,0] neg_hi:[1,0,0]
	v_pk_fma_f32 v[110:111], v[98:99], s[14:15], v[84:85] op_sel_hi:[1,0,1]
	v_pk_add_f32 v[82:83], v[82:83], v[84:85]
	v_pk_add_f32 v[46:47], v[40:41], v[38:39]
	v_pk_add_f32 v[84:85], v[40:41], v[38:39] neg_lo:[0,1] neg_hi:[0,1]
	v_pk_fma_f32 v[58:59], v[98:99], s[18:19], v[58:59] op_sel_hi:[1,0,1] neg_lo:[1,0,0] neg_hi:[1,0,0]
	v_fma_f32 v98, -2.0, v38, v46
	v_fma_f32 v99, 2.0, v39, v85
	ds_read2_b64 v[38:41], v11 offset0:48 offset1:99
	v_pk_mul_f32 v[26:27], v[44:45], v[26:27] op_sel_hi:[1,0]
	v_pk_fma_f32 v[110:111], v[114:115], s[16:17], v[110:111] op_sel_hi:[1,0,1]
	v_pk_fma_f32 v[106:107], v[44:45], v[76:77], v[26:27] op_sel:[0,0,1] op_sel_hi:[1,1,0] neg_lo:[0,0,1] neg_hi:[0,0,1]
	v_pk_fma_f32 v[26:27], v[44:45], v[76:77], v[26:27] op_sel:[0,0,1] op_sel_hi:[1,0,0]
	v_mov_b32_e32 v114, v148
	v_mov_b32_e32 v107, v27
	s_waitcnt lgkmcnt(0)
	v_pk_mul_f32 v[26:27], v[40:41], v[68:69] op_sel:[0,1]
	v_mov_b32_e32 v115, v151
	v_pk_fma_f32 v[44:45], v[40:41], v[68:69], v[26:27] op_sel:[0,0,1] op_sel_hi:[1,1,0] neg_lo:[0,0,1] neg_hi:[0,0,1]
	v_pk_fma_f32 v[26:27], v[40:41], v[68:69], v[26:27] op_sel:[0,0,1] op_sel_hi:[1,0,0]
	v_mov_b32_e32 v40, v95
	v_mov_b32_e32 v41, v37
	;; [unrolled: 1-line block ×6, first 2 shown]
	v_pk_mul_f32 v[40:41], v[40:41], v[114:115]
	v_mov_b32_e32 v152, v151
	v_pk_fma_f32 v[110:111], v[134:135], 0.5, v[110:111] op_sel_hi:[1,0,1] neg_lo:[1,0,0] neg_hi:[1,0,0]
	v_pk_fma_f32 v[114:115], v[94:95], v[154:155], v[40:41]
	v_pk_fma_f32 v[26:27], v[26:27], v[154:155], v[40:41] neg_lo:[0,0,1] neg_hi:[0,0,1]
	v_mov_b32_e32 v40, v37
	v_mov_b32_e32 v37, v95
	;; [unrolled: 1-line block ×3, first 2 shown]
	v_pk_fma_f32 v[110:111], v[132:133], s[18:19], v[110:111] op_sel_hi:[1,0,1] neg_lo:[1,0,0] neg_hi:[1,0,0]
	v_mov_b32_e32 v41, v94
	v_mov_b32_e32 v151, v148
	v_pk_mul_f32 v[36:37], v[36:37], v[152:153]
	v_mov_b32_e32 v130, v91
	v_mov_b32_e32 v131, v9
	;; [unrolled: 1-line block ×5, first 2 shown]
	v_pk_fma_f32 v[94:95], v[40:41], v[150:151], v[36:37] op_sel_hi:[1,0,1]
	v_pk_fma_f32 v[36:37], v[40:41], v[150:151], v[36:37] neg_lo:[0,0,1] neg_hi:[0,0,1]
	v_mov_b32_e32 v40, v90
	v_mov_b32_e32 v41, v8
	v_pk_mul_f32 v[130:131], v[130:131], v[132:133]
	v_mov_b32_e32 v72, v67
	v_pk_fma_f32 v[132:133], v[90:91], v[78:79], v[130:131]
	v_pk_fma_f32 v[40:41], v[40:41], v[78:79], v[130:131] neg_lo:[0,0,1] neg_hi:[0,0,1]
	v_mov_b32_e32 v130, v9
	v_mov_b32_e32 v9, v91
	;; [unrolled: 1-line block ×5, first 2 shown]
	v_pk_mul_f32 v[8:9], v[8:9], v[72:73]
	v_mov_b32_e32 v95, v37
	v_pk_fma_f32 v[90:91], v[130:131], v[66:67], v[8:9] op_sel_hi:[1,0,1]
	v_pk_fma_f32 v[8:9], v[130:131], v[66:67], v[8:9] neg_lo:[0,0,1] neg_hi:[0,0,1]
	v_mov_b32_e32 v133, v41
	v_mov_b32_e32 v54, v37
	v_mov_b32_e32 v56, v41
	v_mov_b32_e32 v50, v27
	v_mov_b32_e32 v52, v9
	v_mov_b32_e32 v115, v27
	v_mov_b32_e32 v91, v9
	v_pk_add_f32 v[134:135], v[94:95], v[132:133]
	v_pk_add_f32 v[94:95], v[94:95], v[132:133] neg_lo:[0,1] neg_hi:[0,1]
	v_pk_add_f32 v[36:37], v[54:55], v[56:57]
	v_pk_add_f32 v[8:9], v[50:51], v[52:53]
	;; [unrolled: 1-line block ×3, first 2 shown]
	v_pk_add_f32 v[90:91], v[114:115], v[90:91] neg_lo:[0,1] neg_hi:[0,1]
	v_pk_mul_f32 v[114:115], v[94:95], s[26:27]
	v_mov_b32_e32 v26, v9
	v_mov_b32_e32 v27, v2
	;; [unrolled: 1-line block ×4, first 2 shown]
	v_pk_fma_f32 v[114:115], v[90:91], s[22:23], v[114:115]
	v_pk_add_f32 v[26:27], v[26:27], v[40:41] neg_lo:[0,1] neg_hi:[0,1]
	v_pk_add_f32 v[50:51], v[106:107], v[44:45] neg_lo:[0,1] neg_hi:[0,1]
	v_pk_fma_f32 v[40:41], v[26:27], s[8:9], v[114:115] op_sel_hi:[1,0,1]
	v_pk_mul_f32 v[52:53], v[50:51], s[10:11] op_sel_hi:[1,0]
	v_mov_b32_e32 v3, v134
	v_pk_add_f32 v[40:41], v[52:53], v[40:41] op_sel:[1,0] op_sel_hi:[0,1]
	v_mov_b32_e32 v52, v36
	v_mov_b32_e32 v53, v130
	;; [unrolled: 1-line block ×3, first 2 shown]
	v_pk_fma_f32 v[54:55], v[52:53], s[14:15], v[80:81] op_sel_hi:[1,0,1]
	v_mov_b32_e32 v56, v8
	v_mov_b32_e32 v57, v134
	v_pk_add_f32 v[2:3], v[2:3], v[6:7]
	v_pk_add_f32 v[6:7], v[8:9], v[36:37]
	v_pk_fma_f32 v[54:55], v[56:57], s[16:17], v[54:55] op_sel_hi:[1,0,1]
	v_mov_b32_e32 v8, v2
	v_mov_b32_e32 v9, v7
	v_pk_add_f32 v[130:131], v[6:7], v[2:3]
	v_pk_fma_f32 v[36:37], v[8:9], 0.5, v[54:55] op_sel_hi:[1,0,1] neg_lo:[1,0,0] neg_hi:[1,0,0]
	v_pk_add_f32 v[54:55], v[106:107], v[44:45]
	v_pk_add_f32 v[106:107], v[106:107], v[130:131]
	v_pk_mul_f32 v[4:5], v[112:113], v[4:5] op_sel_hi:[1,0]
	v_pk_add_f32 v[44:45], v[44:45], v[106:107]
	v_pk_mul_f32 v[106:107], v[92:93], v[32:33] op_sel:[0,1]
	v_pk_add_f32 v[102:103], v[58:59], v[0:1]
	v_pk_fma_f32 v[130:131], v[92:93], v[32:33], v[106:107] op_sel:[0,0,1] op_sel_hi:[1,1,0] neg_lo:[0,0,1] neg_hi:[0,0,1]
	v_pk_fma_f32 v[92:93], v[92:93], v[32:33], v[106:107] op_sel:[0,0,1] op_sel_hi:[1,0,0]
	v_pk_add_f32 v[58:59], v[58:59], v[0:1] neg_lo:[0,1] neg_hi:[0,1]
	v_mov_b32_e32 v131, v93
	v_pk_fma_f32 v[92:93], v[112:113], v[34:35], v[4:5] op_sel:[0,0,1] op_sel_hi:[1,1,0] neg_lo:[0,0,1] neg_hi:[0,0,1]
	v_pk_fma_f32 v[4:5], v[112:113], v[34:35], v[4:5] op_sel:[0,0,1] op_sel_hi:[1,0,0]
	v_pk_add_f32 v[136:137], v[110:111], v[60:61]
	v_mov_b32_e32 v93, v5
	v_pk_mul_f32 v[4:5], v[96:97], v[28:29] op_sel:[0,1]
	v_pk_add_f32 v[110:111], v[110:111], v[60:61] neg_lo:[0,1] neg_hi:[0,1]
	v_pk_fma_f32 v[106:107], v[96:97], v[28:29], v[4:5] op_sel:[0,0,1] op_sel_hi:[1,1,0] neg_lo:[0,0,1] neg_hi:[0,0,1]
	v_pk_fma_f32 v[4:5], v[96:97], v[28:29], v[4:5] op_sel:[0,0,1] op_sel_hi:[1,0,0]
	v_mov_b32_e32 v103, v59
	v_mov_b32_e32 v107, v5
	v_pk_mul_f32 v[4:5], v[108:109], v[10:11] op_sel_hi:[1,0]
	v_mov_b32_e32 v137, v111
	v_pk_fma_f32 v[96:97], v[108:109], v[30:31], v[4:5] op_sel:[0,0,1] op_sel_hi:[1,1,0] neg_lo:[0,0,1] neg_hi:[0,0,1]
	v_pk_fma_f32 v[4:5], v[108:109], v[30:31], v[4:5] op_sel:[0,0,1] op_sel_hi:[1,0,0]
	v_mov_b32_e32 v147, v139
	v_mov_b32_e32 v97, v5
	v_pk_mul_f32 v[4:5], v[38:39], v[20:21] op_sel:[0,1]
	v_mov_b32_e32 v47, v85
	v_pk_fma_f32 v[108:109], v[38:39], v[20:21], v[4:5] op_sel:[0,0,1] op_sel_hi:[1,1,0] neg_lo:[0,0,1] neg_hi:[0,0,1]
	v_pk_fma_f32 v[4:5], v[38:39], v[20:21], v[4:5] op_sel:[0,0,1] op_sel_hi:[1,0,0]
	v_fma_f32 v0, -2.0, v0, v102
	v_mov_b32_e32 v109, v5
	v_pk_mul_f32 v[4:5], v[104:105], v[12:13] op_sel_hi:[1,0]
	v_fma_f32 v60, -2.0, v60, v136
	v_pk_fma_f32 v[38:39], v[104:105], v[22:23], v[4:5] op_sel:[0,0,1] op_sel_hi:[1,1,0] neg_lo:[0,0,1] neg_hi:[0,0,1]
	v_pk_fma_f32 v[4:5], v[104:105], v[22:23], v[4:5] op_sel:[0,0,1] op_sel_hi:[1,0,0]
	v_fma_f32 v61, 2.0, v61, v111
	v_mov_b32_e32 v39, v5
	v_pk_mul_f32 v[4:5], v[88:89], v[16:17] op_sel:[0,1]
	v_fma_f32 v140, -2.0, v140, v146
	v_pk_fma_f32 v[104:105], v[88:89], v[16:17], v[4:5] op_sel:[0,0,1] op_sel_hi:[1,1,0] neg_lo:[0,0,1] neg_hi:[0,0,1]
	v_pk_fma_f32 v[4:5], v[88:89], v[16:17], v[4:5] op_sel:[0,0,1] op_sel_hi:[1,0,0]
	v_fma_f32 v141, 2.0, v141, v139
	v_mov_b32_e32 v105, v5
	v_pk_mul_f32 v[4:5], v[100:101], v[42:43] op_sel_hi:[1,0]
	v_pk_add_f32 v[88:89], v[92:93], v[104:105]
	v_pk_fma_f32 v[42:43], v[100:101], v[18:19], v[4:5] op_sel:[0,0,1] op_sel_hi:[1,1,0] neg_lo:[0,0,1] neg_hi:[0,0,1]
	v_pk_fma_f32 v[4:5], v[100:101], v[18:19], v[4:5] op_sel:[0,0,1] op_sel_hi:[1,0,0]
	v_pk_add_f32 v[92:93], v[92:93], v[104:105] neg_lo:[0,1] neg_hi:[0,1]
	v_mov_b32_e32 v43, v5
	v_pk_add_f32 v[4:5], v[130:131], v[42:43]
	v_pk_add_f32 v[42:43], v[130:131], v[42:43] neg_lo:[0,1] neg_hi:[0,1]
	v_pk_add_f32 v[104:105], v[96:97], v[108:109] neg_lo:[0,1] neg_hi:[0,1]
	v_pk_add_f32 v[100:101], v[106:107], v[38:39]
	v_pk_add_f32 v[38:39], v[106:107], v[38:39] neg_lo:[0,1] neg_hi:[0,1]
	v_pk_mul_f32 v[112:113], v[104:105], s[20:21] op_sel:[1,0] op_sel_hi:[0,0]
	s_waitcnt lgkmcnt(0)
	; wave barrier
	ds_write2_b64 v168, v[82:83], v[102:103] offset1:51
	ds_write2_b64 v168, v[136:137], v[146:147] offset0:102 offset1:153
	ds_write2_b64 v168, v[46:47], v[98:99] offset0:204 offset1:255
	;; [unrolled: 1-line block ×3, first 2 shown]
	v_pk_mul_f32 v[46:47], v[42:43], s[22:23] op_sel:[1,0] op_sel_hi:[0,0]
	v_pk_mul_f32 v[102:103], v[104:105], s[22:23] op_sel:[1,0] op_sel_hi:[0,0]
	v_pk_mul_f32 v[38:39], v[38:39], s[8:9] op_sel_hi:[1,0]
	v_pk_add_f32 v[106:107], v[96:97], v[108:109]
	v_pk_fma_f32 v[112:113], v[92:93], s[24:25], v[112:113] op_sel:[1,0,0] op_sel_hi:[0,0,1] neg_lo:[0,0,1] neg_hi:[0,0,1]
	v_pk_fma_f32 v[130:131], v[88:89], s[14:15], v[86:87] op_sel_hi:[1,0,1]
	v_pk_fma_f32 v[46:47], v[92:93], s[20:21], v[46:47] op_sel:[1,0,0] op_sel_hi:[0,0,1]
	v_pk_fma_f32 v[102:103], v[42:43], s[20:21], v[102:103] op_sel:[1,0,0] op_sel_hi:[0,0,1] neg_lo:[0,0,1] neg_hi:[0,0,1]
	v_pk_add_f32 v[112:113], v[38:39], v[112:113] op_sel:[1,0] op_sel_hi:[0,1]
	v_pk_fma_f32 v[130:131], v[106:107], s[16:17], v[130:131] op_sel_hi:[1,0,1]
	v_pk_add_f32 v[46:47], v[38:39], v[46:47] op_sel:[1,0] op_sel_hi:[0,1]
	v_pk_add_f32 v[38:39], v[102:103], v[38:39] op_sel:[0,1] op_sel_hi:[1,0] neg_lo:[0,1] neg_hi:[0,1]
	v_pk_fma_f32 v[102:103], v[106:107], s[14:15], v[86:87] op_sel_hi:[1,0,1]
	v_pk_fma_f32 v[130:131], v[100:101], 0.5, v[130:131] op_sel_hi:[1,0,1] neg_lo:[1,0,0] neg_hi:[1,0,0]
	v_pk_fma_f32 v[60:61], v[4:5], s[14:15], v[86:87] op_sel_hi:[1,0,1]
	v_pk_fma_f32 v[102:103], v[4:5], s[16:17], v[102:103] op_sel_hi:[1,0,1]
	v_pk_fma_f32 v[130:131], v[4:5], s[18:19], v[130:131] op_sel_hi:[1,0,1] neg_lo:[1,0,0] neg_hi:[1,0,0]
	v_pk_fma_f32 v[60:61], v[88:89], s[16:17], v[60:61] op_sel_hi:[1,0,1]
	v_pk_fma_f32 v[102:103], v[100:101], 0.5, v[102:103] op_sel_hi:[1,0,1] neg_lo:[1,0,0] neg_hi:[1,0,0]
	v_pk_add_f32 v[4:5], v[88:89], v[4:5]
	v_pk_fma_f32 v[60:61], v[100:101], 0.5, v[60:61] op_sel_hi:[1,0,1] neg_lo:[1,0,0] neg_hi:[1,0,0]
	v_pk_fma_f32 v[102:103], v[88:89], s[18:19], v[102:103] op_sel_hi:[1,0,1] neg_lo:[1,0,0] neg_hi:[1,0,0]
	v_pk_add_f32 v[88:89], v[106:107], v[4:5]
	v_pk_add_f32 v[4:5], v[100:101], v[4:5]
	v_pk_fma_f32 v[112:113], v[42:43], s[10:11], v[112:113] op_sel:[1,0,0] op_sel_hi:[0,0,1]
	v_pk_fma_f32 v[46:47], v[104:105], s[10:11], v[46:47] op_sel:[1,0,0] op_sel_hi:[0,0,1]
	v_pk_fma_f32 v[60:61], v[106:107], s[18:19], v[60:61] op_sel_hi:[1,0,1] neg_lo:[1,0,0] neg_hi:[1,0,0]
	v_pk_fma_f32 v[38:39], v[92:93], s[10:11], v[38:39] op_sel:[1,0,0] op_sel_hi:[0,0,1]
	v_pk_add_f32 v[42:43], v[104:105], v[42:43] op_sel:[1,1] op_sel_hi:[0,0]
	v_pk_add_f32 v[104:105], v[100:101], v[86:87]
	v_pk_add_f32 v[4:5], v[96:97], v[4:5]
	v_pk_add_f32 v[132:133], v[130:131], v[112:113]
	v_pk_add_f32 v[130:131], v[130:131], v[112:113] neg_lo:[0,1] neg_hi:[0,1]
	v_pk_add_f32 v[82:83], v[60:61], v[46:47]
	v_pk_add_f32 v[60:61], v[60:61], v[46:47] neg_lo:[0,1] neg_hi:[0,1]
	v_pk_add_f32 v[110:111], v[102:103], v[38:39]
	v_pk_add_f32 v[102:103], v[102:103], v[38:39] neg_lo:[0,1] neg_hi:[0,1]
	v_pk_add_f32 v[42:43], v[42:43], v[92:93] op_sel:[0,1] op_sel_hi:[1,0] neg_lo:[0,1] neg_hi:[0,1]
	v_pk_fma_f32 v[88:89], v[88:89], 0.5, v[104:105] op_sel_hi:[1,0,1] neg_lo:[1,0,0] neg_hi:[1,0,0]
	v_pk_add_f32 v[4:5], v[108:109], v[4:5]
	v_fma_f32 v1, 2.0, v1, v59
	v_add_f32_e32 v58, v112, v112
	v_add_f32_e32 v113, v113, v113
	v_mov_b32_e32 v84, v82
	v_mov_b32_e32 v85, v61
	v_mov_b32_e32 v136, v110
	v_mov_b32_e32 v137, v103
	v_pk_mul_f32 v[92:93], v[42:43], s[8:9] op_sel_hi:[1,0]
	v_pk_fma_f32 v[104:105], v[42:43], s[8:9], v[88:89] op_sel_hi:[1,0,1]
	v_pk_fma_f32 v[42:43], v[42:43], s[8:9], v[88:89] op_sel_hi:[1,0,1] neg_lo:[1,0,0] neg_hi:[1,0,0]
	v_pk_add_f32 v[4:5], v[4:5], v[86:87]
	v_mov_b32_e32 v112, v132
	v_mov_b32_e32 v59, v131
	;; [unrolled: 1-line block ×4, first 2 shown]
	ds_write2_b64 v25, v[84:85], v[136:137] offset0:126 offset1:177
	v_mov_b32_e32 v88, v104
	v_mov_b32_e32 v89, v43
	v_add_f32_e32 v92, v92, v92
	v_add_f32_e32 v107, v93, v93
	ds_write2_b64 v13, v[0:1], v[4:5] offset0:152 offset1:203
	ds_write2_b64 v15, v[88:89], v[134:135] offset0:100 offset1:151
	v_pk_add_f32 v[0:1], v[132:133], v[58:59] neg_lo:[0,1] neg_hi:[0,1]
	v_pk_add_f32 v[4:5], v[112:113], v[130:131]
	v_mov_b32_e32 v106, v104
	v_mov_b32_e32 v93, v43
	;; [unrolled: 1-line block ×3, first 2 shown]
	v_pk_add_f32 v[4:5], v[104:105], v[92:93] neg_lo:[0,1] neg_hi:[0,1]
	v_pk_add_f32 v[42:43], v[106:107], v[42:43]
	v_add_f32_e32 v38, v38, v38
	v_add_f32_e32 v139, v39, v39
	v_mov_b32_e32 v5, v43
	v_mov_b32_e32 v138, v110
	;; [unrolled: 1-line block ×3, first 2 shown]
	v_add_f32_e32 v46, v46, v46
	v_add_f32_e32 v99, v47, v47
	ds_write2_b64 v15, v[0:1], v[4:5] offset0:202 offset1:253
	v_pk_add_f32 v[0:1], v[110:111], v[38:39] neg_lo:[0,1] neg_hi:[0,1]
	v_pk_add_f32 v[4:5], v[138:139], v[102:103]
	v_mov_b32_e32 v98, v82
	v_mov_b32_e32 v47, v61
	v_pk_fma_f32 v[36:37], v[54:55], s[18:19], v[36:37] op_sel_hi:[1,0,1] neg_lo:[1,0,0] neg_hi:[1,0,0]
	v_mov_b32_e32 v1, v5
	v_pk_add_f32 v[4:5], v[82:83], v[46:47] neg_lo:[0,1] neg_hi:[0,1]
	v_pk_add_f32 v[38:39], v[98:99], v[60:61]
	v_pk_add_f32 v[114:115], v[36:37], v[40:41]
	v_pk_add_f32 v[36:37], v[36:37], v[40:41] neg_lo:[0,1] neg_hi:[0,1]
	v_mov_b32_e32 v5, v39
	v_pk_add_f32 v[44:45], v[44:45], v[80:81]
	ds_write2_b64 v11, v[0:1], v[4:5] offset0:48 offset1:99
	v_mov_b32_e32 v115, v37
	v_add_u32_e32 v0, 0x1800, v49
	v_fma_f32 v41, 2.0, v41, v37
	ds_write2_b64 v0, v[44:45], v[114:115] offset0:150 offset1:201
	v_mov_b32_e32 v0, v90
	v_mov_b32_e32 v1, v95
	v_pk_mul_f32 v[36:37], v[50:51], s[22:23] op_sel_hi:[1,0]
	v_pk_fma_f32 v[38:39], v[54:55], s[14:15], v[80:81] op_sel_hi:[1,0,1]
	v_pk_fma_f32 v[36:37], v[0:1], s[20:21], v[36:37] op_sel:[0,0,1] op_sel_hi:[1,0,0] neg_lo:[0,0,1] neg_hi:[0,0,1]
	v_pk_fma_f32 v[38:39], v[52:53], s[16:17], v[38:39] op_sel_hi:[1,0,1]
	v_mov_b32_e32 v4, v94
	v_mov_b32_e32 v5, v91
	v_pk_fma_f32 v[36:37], v[26:27], s[8:9], v[36:37] op_sel_hi:[1,0,1] neg_lo:[1,0,0] neg_hi:[1,0,0]
	v_pk_fma_f32 v[38:39], v[8:9], 0.5, v[38:39] op_sel_hi:[1,0,1] neg_lo:[1,0,0] neg_hi:[1,0,0]
	v_pk_fma_f32 v[36:37], v[4:5], s[10:11], v[36:37] op_sel_hi:[1,0,1]
	v_pk_fma_f32 v[38:39], v[56:57], s[18:19], v[38:39] op_sel_hi:[1,0,1] neg_lo:[1,0,0] neg_hi:[1,0,0]
	v_mov_b32_e32 v44, v91
	v_pk_add_f32 v[42:43], v[38:39], v[36:37]
	v_pk_add_f32 v[38:39], v[38:39], v[36:37] neg_lo:[0,1] neg_hi:[0,1]
	v_mov_b32_e32 v45, v94
	v_fma_f32 v38, -2.0, v36, v42
	v_mov_b32_e32 v43, v39
	v_fmac_f32_e32 v39, 2.0, v37
	v_mov_b32_e32 v36, v95
	v_mov_b32_e32 v37, v90
	v_pk_add_f32 v[36:37], v[50:51], v[36:37]
	v_mov_b32_e32 v7, v3
	v_pk_add_f32 v[36:37], v[36:37], v[44:45] neg_lo:[0,1] neg_hi:[0,1]
	v_pk_add_f32 v[44:45], v[8:9], v[80:81]
	v_pk_add_f32 v[2:3], v[54:55], v[6:7]
	v_pk_mul_f32 v[36:37], v[36:37], s[8:9] op_sel_hi:[1,0]
	v_pk_fma_f32 v[2:3], v[2:3], 0.5, v[44:45] op_sel_hi:[1,0,1] neg_lo:[1,0,0] neg_hi:[1,0,0]
	v_add_u32_e32 v10, 0x1c00, v49
	v_pk_add_f32 v[6:7], v[2:3], v[36:37] op_sel:[0,1] op_sel_hi:[1,0]
	v_pk_add_f32 v[2:3], v[2:3], v[36:37] op_sel:[0,1] op_sel_hi:[1,0] neg_lo:[0,1] neg_hi:[0,1]
	v_fma_f32 v40, -2.0, v40, v114
	v_mov_b32_e32 v7, v3
	v_fma_f32 v2, -2.0, v37, v6
	ds_write2_b64 v10, v[42:43], v[6:7] offset0:124 offset1:175
	v_pk_mul_f32 v[6:7], v[50:51], s[20:21] op_sel_hi:[1,0]
	v_fmac_f32_e32 v3, 2.0, v36
	v_pk_fma_f32 v[4:5], v[4:5], s[24:25], v[6:7] op_sel:[0,0,1] op_sel_hi:[1,0,0] neg_lo:[0,0,1] neg_hi:[0,0,1]
	v_accvgpr_write_b32 a77, v71
	v_pk_fma_f32 v[4:5], v[26:27], s[8:9], v[4:5] op_sel_hi:[1,0,1]
	v_accvgpr_write_b32 a76, v70
	v_pk_fma_f32 v[0:1], v[0:1], s[10:11], v[4:5] op_sel_hi:[1,0,1]
	v_pk_fma_f32 v[4:5], v[56:57], s[14:15], v[80:81] op_sel_hi:[1,0,1]
	v_accvgpr_write_b32 a75, v69
	v_pk_fma_f32 v[4:5], v[54:55], s[16:17], v[4:5] op_sel_hi:[1,0,1]
	v_accvgpr_write_b32 a74, v68
	v_pk_fma_f32 v[4:5], v[8:9], 0.5, v[4:5] op_sel_hi:[1,0,1] neg_lo:[1,0,0] neg_hi:[1,0,0]
	v_accvgpr_write_b32 a72, v64
	v_pk_fma_f32 v[4:5], v[52:53], s[18:19], v[4:5] op_sel_hi:[1,0,1] neg_lo:[1,0,0] neg_hi:[1,0,0]
	v_accvgpr_write_b32 a83, v77
	v_pk_add_f32 v[6:7], v[4:5], v[0:1]
	v_pk_add_f32 v[4:5], v[4:5], v[0:1] neg_lo:[0,1] neg_hi:[0,1]
	v_accvgpr_write_b32 a87, v79
	v_fma_f32 v4, -2.0, v0, v6
	v_mov_b32_e32 v7, v5
	v_fmac_f32_e32 v5, 2.0, v1
	v_add_u32_e32 v0, 0x2000, v49
	ds_write2_b64 v0, v[6:7], v[4:5] offset0:98 offset1:149
	ds_write2_b64 v0, v[2:3], v[38:39] offset0:200 offset1:251
	v_lshlrev_b32_e32 v0, 4, v128
	ds_write_b64 v49, v[40:41] offset:10608
	s_waitcnt lgkmcnt(0)
	; wave barrier
	s_waitcnt lgkmcnt(0)
	global_load_dwordx4 v[44:47], v0, s[0:1] offset:3536
	v_lshlrev_b32_e32 v0, 4, v126
	global_load_dwordx4 v[68:71], v0, s[0:1] offset:3536
	v_lshlrev_b32_e32 v0, 4, v124
	;; [unrolled: 2-line block ×3, first 2 shown]
	v_mov_b32_e32 v1, 0
	v_lshl_add_u64 v[2:3], s[12:13], 0, v[0:1]
	v_lshlrev_b32_e32 v0, 4, v62
	v_lshlrev_b32_e32 v1, 4, v48
	global_load_dwordx4 v[92:95], v0, s[0:1] offset:3536
	global_load_dwordx4 v[50:53], v1, s[0:1] offset:3536
	v_lshlrev_b32_e32 v0, 4, v116
	v_lshlrev_b32_e32 v1, 4, v122
	global_load_dwordx4 v[88:91], v0, s[0:1] offset:3536
	global_load_dwordx4 v[84:87], v1, s[0:1] offset:3536
	v_lshlrev_b32_e32 v0, 4, v118
	v_accvgpr_write_b32 a82, v76
	v_accvgpr_write_b32 a81, v75
	;; [unrolled: 1-line block ×5, first 2 shown]
	ds_read2_b64 v[4:7], v11 offset0:48 offset1:99
	v_lshlrev_b32_e32 v1, 4, v120
	global_load_dwordx4 v[76:79], v0, s[0:1] offset:3536
	global_load_dwordx4 v[72:75], v1, s[0:1] offset:3536
	ds_read2_b64 v[36:39], v14 offset0:200 offset1:251
	ds_read2_b64 v[40:43], v15 offset0:202 offset1:253
	s_movk_i32 s10, 0x2000
	v_accvgpr_write_b32 a98, v154
	v_accvgpr_write_b32 a99, v155
	v_accvgpr_write_b32 a92, v152
	v_accvgpr_write_b32 a84, v148
	s_waitcnt vmcnt(8)
	v_mov_b32_e32 v0, v45
	s_waitcnt lgkmcnt(2)
	v_pk_mul_f32 v[0:1], v[4:5], v[0:1] op_sel:[1,0] op_sel_hi:[0,1]
	v_pk_fma_f32 v[0:1], v[4:5], v[44:45], v[0:1] neg_lo:[0,0,1] neg_hi:[0,0,1]
	v_pk_mul_f32 v[8:9], v[4:5], v[44:45] op_sel:[1,0] op_sel_hi:[0,1]
	v_mov_b32_e32 v1, v8
	v_pk_fma_f32 v[4:5], v[4:5], v[44:45], v[0:1] op_sel:[1,0,0] op_sel_hi:[0,1,1]
	v_mov_b32_e32 v4, v47
	s_waitcnt lgkmcnt(1)
	v_pk_mul_f32 v[26:27], v[38:39], v[46:47] op_sel:[1,0] op_sel_hi:[0,1]
	v_pk_mul_f32 v[8:9], v[38:39], v[4:5] op_sel:[1,0] op_sel_hi:[0,1]
	v_mov_b32_e32 v1, v26
	v_accvgpr_write_b32 a119, v47
	v_pk_fma_f32 v[8:9], v[38:39], v[46:47], v[8:9] neg_lo:[0,0,1] neg_hi:[0,0,1]
	v_accvgpr_write_b32 a118, v46
	v_accvgpr_write_b32 a117, v45
	;; [unrolled: 1-line block ×3, first 2 shown]
	v_pk_fma_f32 v[26:27], v[38:39], v[46:47], v[0:1] op_sel:[1,0,0] op_sel_hi:[0,1,1]
	ds_read2_b64 v[44:47], v13 offset0:50 offset1:101
	s_waitcnt vmcnt(7) lgkmcnt(1)
	v_pk_mul_f32 v[38:39], v[42:43], v[68:69] op_sel:[0,1]
	v_mov_b32_e32 v4, v71
	v_pk_fma_f32 v[48:49], v[42:43], v[68:69], v[38:39] op_sel:[0,0,1] op_sel_hi:[1,1,0] neg_lo:[0,0,1] neg_hi:[0,0,1]
	v_pk_fma_f32 v[38:39], v[42:43], v[68:69], v[38:39] op_sel:[0,0,1] op_sel_hi:[1,0,0]
	v_mov_b32_e32 v1, v5
	v_mov_b32_e32 v49, v39
	v_pk_mul_f32 v[38:39], v[36:37], v[4:5] op_sel_hi:[1,0]
	s_waitcnt lgkmcnt(0)
	v_pk_add_f32 v[4:5], v[46:47], v[0:1]
	v_pk_fma_f32 v[42:43], v[36:37], v[70:71], v[38:39] op_sel:[0,0,1] op_sel_hi:[1,1,0] neg_lo:[0,0,1] neg_hi:[0,0,1]
	v_pk_fma_f32 v[36:37], v[36:37], v[70:71], v[38:39] op_sel:[0,0,1] op_sel_hi:[1,0,0]
	v_mov_b32_e32 v9, v27
	v_mov_b32_e32 v43, v37
	v_pk_add_f32 v[36:37], v[44:45], v[48:49]
	v_pk_add_f32 v[38:39], v[48:49], v[42:43] neg_lo:[0,1] neg_hi:[0,1]
	v_pk_add_f32 v[118:119], v[36:37], v[42:43]
	v_pk_add_f32 v[36:37], v[48:49], v[42:43]
	v_pk_add_f32 v[100:101], v[4:5], v[8:9]
	v_pk_add_f32 v[4:5], v[0:1], v[8:9]
	v_pk_add_f32 v[0:1], v[0:1], v[8:9] neg_lo:[0,1] neg_hi:[0,1]
	v_pk_fma_f32 v[36:37], v[36:37], 0.5, v[44:45] op_sel_hi:[1,0,1] neg_lo:[1,0,0] neg_hi:[1,0,0]
	v_pk_mul_f32 v[38:39], v[38:39], s[8:9] op_sel_hi:[1,0]
	v_pk_fma_f32 v[4:5], v[4:5], 0.5, v[46:47] op_sel_hi:[1,0,1] neg_lo:[1,0,0] neg_hi:[1,0,0]
	v_pk_mul_f32 v[0:1], v[0:1], s[8:9] op_sel_hi:[1,0]
	v_pk_add_f32 v[56:57], v[36:37], v[38:39] op_sel:[0,1] op_sel_hi:[1,0]
	v_pk_add_f32 v[98:99], v[36:37], v[38:39] op_sel:[0,1] op_sel_hi:[1,0] neg_lo:[0,1] neg_hi:[0,1]
	v_pk_add_f32 v[8:9], v[4:5], v[0:1] op_sel:[0,1] op_sel_hi:[1,0]
	v_pk_add_f32 v[104:105], v[4:5], v[0:1] op_sel:[0,1] op_sel_hi:[1,0] neg_lo:[0,1] neg_hi:[0,1]
	ds_read2_b64 v[36:39], v13 offset0:152 offset1:203
	ds_read_b64 v[0:1], v168 offset:10608
	s_waitcnt vmcnt(6)
	v_pk_mul_f32 v[4:5], v[6:7], v[64:65] op_sel:[0,1]
	v_mov_b32_e32 v102, v8
	v_mov_b32_e32 v103, v105
	;; [unrolled: 1-line block ×3, first 2 shown]
	v_pk_fma_f32 v[8:9], v[6:7], v[64:65], v[4:5] op_sel:[0,0,1] op_sel_hi:[1,1,0] neg_lo:[0,0,1] neg_hi:[0,0,1]
	v_pk_fma_f32 v[4:5], v[6:7], v[64:65], v[4:5] op_sel:[0,0,1] op_sel_hi:[1,0,0]
	s_waitcnt vmcnt(4)
	v_accvgpr_write_b32 a149, v53
	v_mov_b32_e32 v4, v67
	v_mov_b32_e32 v9, v5
	s_waitcnt lgkmcnt(0)
	v_pk_mul_f32 v[4:5], v[0:1], v[4:5] op_sel_hi:[1,0]
	v_accvgpr_write_b32 a148, v52
	v_pk_fma_f32 v[6:7], v[0:1], v[66:67], v[4:5] op_sel:[0,0,1] op_sel_hi:[1,1,0] neg_lo:[0,0,1] neg_hi:[0,0,1]
	v_pk_fma_f32 v[0:1], v[0:1], v[66:67], v[4:5] op_sel:[0,0,1] op_sel_hi:[1,0,0]
	v_accvgpr_write_b32 a147, v51
	v_mov_b32_e32 v7, v1
	v_pk_add_f32 v[0:1], v[36:37], v[8:9]
	v_pk_add_f32 v[4:5], v[8:9], v[6:7] neg_lo:[0,1] neg_hi:[0,1]
	v_pk_add_f32 v[106:107], v[0:1], v[6:7]
	v_pk_add_f32 v[0:1], v[8:9], v[6:7]
	v_pk_mul_f32 v[4:5], v[4:5], s[8:9] op_sel_hi:[1,0]
	v_pk_fma_f32 v[0:1], v[0:1], 0.5, v[36:37] op_sel_hi:[1,0,1] neg_lo:[1,0,0] neg_hi:[1,0,0]
	v_accvgpr_write_b32 a146, v50
	v_pk_add_f32 v[8:9], v[0:1], v[4:5] op_sel:[0,1] op_sel_hi:[1,0] neg_lo:[0,1] neg_hi:[0,1]
	v_pk_add_f32 v[108:109], v[0:1], v[4:5] op_sel:[0,1] op_sel_hi:[1,0]
	ds_read2_b64 v[4:7], v25 offset0:126 offset1:177
	ds_read2_b64 v[42:45], v168 offset1:51
	ds_read2_b64 v[46:49], v11 offset0:150 offset1:201
	v_mov_b32_e32 v110, v8
	s_waitcnt vmcnt(0)
	v_mov_b32_e32 v8, v75
	v_mov_b32_e32 v96, v56
	s_waitcnt lgkmcnt(2)
	v_pk_mul_f32 v[0:1], v[4:5], v[50:51] op_sel:[0,1]
	v_mov_b32_e32 v97, v99
	v_pk_fma_f32 v[26:27], v[4:5], v[50:51], v[0:1] op_sel:[0,0,1] op_sel_hi:[1,1,0] neg_lo:[0,0,1] neg_hi:[0,0,1]
	v_pk_fma_f32 v[0:1], v[4:5], v[50:51], v[0:1] op_sel:[0,0,1] op_sel_hi:[1,0,0]
	v_pk_mul_f32 v[4:5], v[6:7], v[88:89] op_sel:[0,1]
	v_mov_b32_e32 v0, v53
	v_mov_b32_e32 v27, v1
	s_waitcnt lgkmcnt(0)
	v_pk_mul_f32 v[0:1], v[48:49], v[0:1] op_sel_hi:[1,0]
	v_pk_fma_f32 v[58:59], v[6:7], v[88:89], v[4:5] op_sel:[0,0,1] op_sel_hi:[1,1,0] neg_lo:[0,0,1] neg_hi:[0,0,1]
	v_pk_fma_f32 v[36:37], v[48:49], v[52:53], v[0:1] op_sel:[0,0,1] op_sel_hi:[1,1,0] neg_lo:[0,0,1] neg_hi:[0,0,1]
	v_pk_fma_f32 v[0:1], v[48:49], v[52:53], v[0:1] op_sel:[0,0,1] op_sel_hi:[1,0,0]
	ds_read2_b64 v[48:51], v168 offset0:102 offset1:153
	ds_read2_b64 v[52:55], v24 offset0:124 offset1:175
	v_pk_fma_f32 v[4:5], v[6:7], v[88:89], v[4:5] op_sel:[0,0,1] op_sel_hi:[1,0,0]
	v_mov_b32_e32 v37, v1
	v_mov_b32_e32 v4, v91
	;; [unrolled: 1-line block ×3, first 2 shown]
	s_waitcnt lgkmcnt(0)
	v_pk_mul_f32 v[4:5], v[52:53], v[4:5] op_sel_hi:[1,0]
	v_pk_add_f32 v[0:1], v[44:45], v[26:27]
	v_pk_fma_f32 v[6:7], v[52:53], v[90:91], v[4:5] op_sel:[0,0,1] op_sel_hi:[1,1,0] neg_lo:[0,0,1] neg_hi:[0,0,1]
	v_pk_fma_f32 v[4:5], v[52:53], v[90:91], v[4:5] op_sel:[0,0,1] op_sel_hi:[1,0,0]
	v_pk_add_f32 v[0:1], v[0:1], v[36:37]
	v_mov_b32_e32 v7, v5
	v_pk_add_f32 v[4:5], v[48:49], v[58:59]
	v_mov_b32_e32 v111, v109
	v_pk_add_f32 v[60:61], v[4:5], v[6:7]
	v_pk_add_f32 v[4:5], v[58:59], v[6:7]
	v_mov_b32_e32 v99, v57
	v_pk_fma_f32 v[48:49], v[4:5], 0.5, v[48:49] op_sel_hi:[1,0,1] neg_lo:[1,0,0] neg_hi:[1,0,0]
	v_pk_add_f32 v[4:5], v[58:59], v[6:7] neg_lo:[0,1] neg_hi:[0,1]
	v_mov_b32_e32 v109, v9
	v_pk_mul_f32 v[52:53], v[4:5], s[8:9] op_sel_hi:[1,0]
	ds_read2_b64 v[4:7], v15 offset0:100 offset1:151
	v_pk_add_f32 v[58:59], v[48:49], v[52:53] op_sel:[0,1] op_sel_hi:[1,0]
	v_pk_add_f32 v[48:49], v[48:49], v[52:53] op_sel:[0,1] op_sel_hi:[1,0] neg_lo:[0,1] neg_hi:[0,1]
	v_mov_b32_e32 v80, v58
	v_mov_b32_e32 v81, v49
	s_waitcnt lgkmcnt(0)
	v_pk_mul_f32 v[52:53], v[4:5], v[84:85] op_sel:[0,1]
	v_mov_b32_e32 v49, v59
	v_pk_fma_f32 v[58:59], v[4:5], v[84:85], v[52:53] op_sel:[0,0,1] op_sel_hi:[1,1,0] neg_lo:[0,0,1] neg_hi:[0,0,1]
	v_pk_fma_f32 v[4:5], v[4:5], v[84:85], v[52:53] op_sel:[0,0,1] op_sel_hi:[1,0,0]
	v_pk_mul_f32 v[82:83], v[6:7], v[76:77] op_sel:[0,1]
	v_mov_b32_e32 v4, v87
	v_mov_b32_e32 v59, v5
	v_pk_mul_f32 v[4:5], v[54:55], v[4:5] op_sel_hi:[1,0]
	v_pk_fma_f32 v[136:137], v[6:7], v[76:77], v[82:83] op_sel:[0,0,1] op_sel_hi:[1,1,0] neg_lo:[0,0,1] neg_hi:[0,0,1]
	v_pk_fma_f32 v[52:53], v[54:55], v[86:87], v[4:5] op_sel:[0,0,1] op_sel_hi:[1,1,0] neg_lo:[0,0,1] neg_hi:[0,0,1]
	v_pk_fma_f32 v[4:5], v[54:55], v[86:87], v[4:5] op_sel:[0,0,1] op_sel_hi:[1,0,0]
	v_pk_fma_f32 v[6:7], v[6:7], v[76:77], v[82:83] op_sel:[0,0,1] op_sel_hi:[1,0,0]
	v_mov_b32_e32 v53, v5
	v_pk_add_f32 v[4:5], v[50:51], v[58:59]
	v_pk_add_f32 v[54:55], v[58:59], v[52:53]
	;; [unrolled: 1-line block ×3, first 2 shown]
	v_pk_add_f32 v[52:53], v[58:59], v[52:53] neg_lo:[0,1] neg_hi:[0,1]
	v_pk_fma_f32 v[50:51], v[54:55], 0.5, v[50:51] op_sel_hi:[1,0,1] neg_lo:[1,0,0] neg_hi:[1,0,0]
	v_pk_mul_f32 v[52:53], v[52:53], s[8:9] op_sel_hi:[1,0]
	v_mov_b32_e32 v6, v79
	v_pk_add_f32 v[54:55], v[50:51], v[52:53] op_sel:[0,1] op_sel_hi:[1,0]
	v_pk_add_f32 v[50:51], v[50:51], v[52:53] op_sel:[0,1] op_sel_hi:[1,0] neg_lo:[0,1] neg_hi:[0,1]
	v_mov_b32_e32 v58, v54
	v_mov_b32_e32 v59, v51
	;; [unrolled: 1-line block ×3, first 2 shown]
	ds_write2_b64 v24, v[48:49], v[50:51] offset0:124 offset1:175
	ds_read2_b64 v[48:51], v168 offset0:204 offset1:255
	ds_read2_b64 v[52:55], v14 offset0:98 offset1:149
	v_mov_b32_e32 v137, v7
	v_accvgpr_write_b32 a137, v79
	v_accvgpr_write_b32 a153, v95
	;; [unrolled: 1-line block ×3, first 2 shown]
	s_waitcnt lgkmcnt(0)
	v_pk_mul_f32 v[6:7], v[52:53], v[6:7] op_sel_hi:[1,0]
	v_accvgpr_write_b32 a165, v107
	v_pk_fma_f32 v[82:83], v[52:53], v[78:79], v[6:7] op_sel:[0,0,1] op_sel_hi:[1,1,0] neg_lo:[0,0,1] neg_hi:[0,0,1]
	v_pk_fma_f32 v[6:7], v[52:53], v[78:79], v[6:7] op_sel:[0,0,1] op_sel_hi:[1,0,0]
	v_pk_mul_f32 v[52:53], v[40:41], v[72:73] op_sel:[0,1]
	v_mov_b32_e32 v83, v7
	v_pk_fma_f32 v[116:117], v[40:41], v[72:73], v[52:53] op_sel:[0,0,1] op_sel_hi:[1,1,0] neg_lo:[0,0,1] neg_hi:[0,0,1]
	v_pk_fma_f32 v[40:41], v[40:41], v[72:73], v[52:53] op_sel:[0,0,1] op_sel_hi:[1,0,0]
	v_pk_add_f32 v[6:7], v[48:49], v[136:137]
	v_mov_b32_e32 v117, v41
	v_pk_mul_f32 v[40:41], v[54:55], v[8:9] op_sel_hi:[1,0]
	v_mov_b32_e32 v8, v95
	v_pk_fma_f32 v[52:53], v[54:55], v[74:75], v[40:41] op_sel:[0,0,1] op_sel_hi:[1,1,0] neg_lo:[0,0,1] neg_hi:[0,0,1]
	v_pk_fma_f32 v[40:41], v[54:55], v[74:75], v[40:41] op_sel:[0,0,1] op_sel_hi:[1,0,0]
	v_pk_add_f32 v[6:7], v[6:7], v[82:83]
	v_mov_b32_e32 v53, v41
	v_pk_add_f32 v[40:41], v[50:51], v[116:117]
	v_pk_add_f32 v[54:55], v[116:117], v[52:53]
	;; [unrolled: 1-line block ×3, first 2 shown]
	v_pk_add_f32 v[52:53], v[116:117], v[52:53] neg_lo:[0,1] neg_hi:[0,1]
	v_pk_fma_f32 v[50:51], v[54:55], 0.5, v[50:51] op_sel_hi:[1,0,1] neg_lo:[1,0,0] neg_hi:[1,0,0]
	v_pk_mul_f32 v[52:53], v[52:53], s[8:9] op_sel_hi:[1,0]
	v_accvgpr_write_b32 a161, v103
	v_pk_add_f32 v[54:55], v[50:51], v[52:53] op_sel:[0,1] op_sel_hi:[1,0] neg_lo:[0,1] neg_hi:[0,1]
	v_pk_add_f32 v[50:51], v[50:51], v[52:53] op_sel:[0,1] op_sel_hi:[1,0]
	v_pk_mul_f32 v[52:53], v[38:39], v[92:93] op_sel:[0,1]
	v_mov_b32_e32 v116, v54
	v_pk_fma_f32 v[138:139], v[38:39], v[92:93], v[52:53] op_sel:[0,0,1] op_sel_hi:[1,1,0] neg_lo:[0,0,1] neg_hi:[0,0,1]
	v_pk_fma_f32 v[38:39], v[38:39], v[92:93], v[52:53] op_sel:[0,0,1] op_sel_hi:[1,0,0]
	v_mov_b32_e32 v117, v51
	v_mov_b32_e32 v139, v39
	v_pk_mul_f32 v[38:39], v[46:47], v[8:9] op_sel_hi:[1,0]
	v_mov_b32_e32 v51, v55
	v_pk_fma_f32 v[52:53], v[46:47], v[94:95], v[38:39] op_sel:[0,0,1] op_sel_hi:[1,1,0] neg_lo:[0,0,1] neg_hi:[0,0,1]
	v_pk_fma_f32 v[38:39], v[46:47], v[94:95], v[38:39] op_sel:[0,0,1] op_sel_hi:[1,0,0]
	v_accvgpr_write_b32 a169, v111
	v_mov_b32_e32 v53, v39
	v_pk_add_f32 v[38:39], v[138:139], v[52:53]
	v_pk_add_f32 v[46:47], v[138:139], v[52:53] neg_lo:[0,1] neg_hi:[0,1]
	v_pk_fma_f32 v[38:39], v[38:39], 0.5, v[42:43] op_sel_hi:[1,0,1] neg_lo:[1,0,0] neg_hi:[1,0,0]
	v_pk_mul_f32 v[46:47], v[46:47], s[8:9] op_sel_hi:[1,0]
	v_accvgpr_write_b32 a136, v78
	v_pk_add_f32 v[140:141], v[38:39], v[46:47] op_sel:[0,1] op_sel_hi:[1,0]
	v_pk_add_f32 v[38:39], v[38:39], v[46:47] op_sel:[0,1] op_sel_hi:[1,0] neg_lo:[0,1] neg_hi:[0,1]
	v_mov_b32_e32 v47, v141
	v_mov_b32_e32 v46, v38
	;; [unrolled: 1-line block ×3, first 2 shown]
	v_pk_add_f32 v[38:39], v[26:27], v[36:37]
	v_pk_add_f32 v[26:27], v[26:27], v[36:37] neg_lo:[0,1] neg_hi:[0,1]
	v_pk_fma_f32 v[38:39], v[38:39], 0.5, v[44:45] op_sel_hi:[1,0,1] neg_lo:[1,0,0] neg_hi:[1,0,0]
	v_pk_mul_f32 v[26:27], v[26:27], s[8:9] op_sel_hi:[1,0]
	v_accvgpr_write_b32 a135, v77
	v_pk_add_f32 v[36:37], v[38:39], v[26:27] op_sel:[0,1] op_sel_hi:[1,0]
	v_pk_add_f32 v[26:27], v[38:39], v[26:27] op_sel:[0,1] op_sel_hi:[1,0] neg_lo:[0,1] neg_hi:[0,1]
	v_mov_b32_e32 v39, v37
	v_mov_b32_e32 v38, v26
	;; [unrolled: 1-line block ×3, first 2 shown]
	v_pk_add_f32 v[26:27], v[42:43], v[138:139]
	ds_write2_b64 v11, v[46:47], v[38:39] offset0:150 offset1:201
	v_pk_add_f32 v[26:27], v[26:27], v[52:53]
	ds_write2_b64 v25, v[36:37], v[80:81] offset0:126 offset1:177
	ds_write2_b64 v168, v[26:27], v[0:1] offset1:51
	ds_write2_b64 v168, v[60:61], v[4:5] offset0:102 offset1:153
	v_pk_add_f32 v[0:1], v[136:137], v[82:83]
	v_pk_add_f32 v[4:5], v[136:137], v[82:83] neg_lo:[0,1] neg_hi:[0,1]
	v_pk_fma_f32 v[0:1], v[0:1], 0.5, v[48:49] op_sel_hi:[1,0,1] neg_lo:[1,0,0] neg_hi:[1,0,0]
	v_pk_mul_f32 v[4:5], v[4:5], s[8:9] op_sel_hi:[1,0]
	ds_write2_b64 v168, v[6:7], v[40:41] offset0:204 offset1:255
	v_pk_add_f32 v[26:27], v[0:1], v[4:5] op_sel:[0,1] op_sel_hi:[1,0]
	v_pk_add_f32 v[0:1], v[0:1], v[4:5] op_sel:[0,1] op_sel_hi:[1,0] neg_lo:[0,1] neg_hi:[0,1]
	v_mov_b32_e32 v4, v26
	v_mov_b32_e32 v5, v1
	;; [unrolled: 1-line block ×3, first 2 shown]
	ds_write2_b64 v15, v[58:59], v[4:5] offset0:100 offset1:151
	ds_write2_b64 v14, v[0:1], v[116:117] offset0:98 offset1:149
	;; [unrolled: 1-line block ×3, first 2 shown]
	v_add_co_u32_e64 v0, s[0:1], s10, v2
	ds_write2_b64 v13, v[118:119], v[100:101] offset0:50 offset1:101
	s_nop 0
	v_addc_co_u32_e64 v1, s[0:1], 0, v3, s[0:1]
	ds_write2_b64 v14, v[98:99], v[104:105] offset0:200 offset1:251
	ds_write2_b64 v13, v[106:107], v[140:141] offset0:152 offset1:203
	ds_write2_b64 v11, v[102:103], v[108:109] offset0:48 offset1:99
	ds_write_b64 v168, v[110:111] offset:10608
	s_waitcnt lgkmcnt(0)
	; wave barrier
	s_waitcnt lgkmcnt(0)
	global_load_dwordx2 v[8:9], v[0:1], off offset:2824
	s_mov_b64 s[0:1], 0x2b08
	v_lshl_add_u64 v[0:1], v[2:3], 0, s[0:1]
	global_load_dwordx2 v[26:27], v[0:1], off offset:648
	global_load_dwordx2 v[36:37], v[0:1], off offset:1296
	;; [unrolled: 1-line block ×5, first 2 shown]
	s_movk_i32 s0, 0x3000
	v_add_co_u32_e64 v4, s[0:1], s0, v2
	v_accvgpr_write_b32 a134, v76
	s_nop 0
	v_addc_co_u32_e64 v5, s[0:1], 0, v3, s[0:1]
	global_load_dwordx2 v[44:45], v[4:5], off offset:3264
	global_load_dwordx2 v[46:47], v[0:1], off offset:3888
	;; [unrolled: 1-line block ×3, first 2 shown]
	s_movk_i32 s0, 0x4000
	v_add_co_u32_e64 v50, s[0:1], s0, v2
	v_accvgpr_write_b32 a152, v94
	s_nop 0
	v_addc_co_u32_e64 v51, s[0:1], 0, v3, s[0:1]
	global_load_dwordx2 v[52:53], v[50:51], off offset:464
	global_load_dwordx2 v[54:55], v[50:51], off offset:1112
	;; [unrolled: 1-line block ×5, first 2 shown]
	s_movk_i32 s0, 0x5000
	global_load_dwordx2 v[50:51], v[50:51], off offset:3704
	v_add_co_u32_e64 v2, s[0:1], s0, v2
	ds_read2_b64 v[4:7], v168 offset1:81
	s_nop 0
	v_addc_co_u32_e64 v3, s[0:1], 0, v3, s[0:1]
	global_load_dwordx2 v[136:137], v[2:3], off offset:904
	global_load_dwordx2 v[80:81], v[2:3], off offset:256
	v_accvgpr_write_b32 a151, v93
	v_accvgpr_write_b32 a150, v92
	;; [unrolled: 1-line block ×14, first 2 shown]
	s_movk_i32 s0, 0x1000
	s_waitcnt vmcnt(15) lgkmcnt(0)
	v_mul_f32_e32 v3, v6, v27
	v_mul_f32_e32 v10, v5, v9
	v_fma_f32 v82, v4, v8, -v10
	v_mul_f32_e32 v83, v4, v9
	v_mul_f32_e32 v4, v7, v27
	v_fmac_f32_e32 v83, v5, v8
	v_fma_f32 v2, v6, v26, -v4
	v_fmac_f32_e32 v3, v7, v26
	ds_write2_b64 v168, v[82:83], v[2:3] offset1:81
	ds_read2_b64 v[2:5], v168 offset0:162 offset1:243
	s_waitcnt vmcnt(14) lgkmcnt(0)
	v_mul_f32_e32 v6, v3, v37
	v_fma_f32 v26, v2, v36, -v6
	ds_read2_b64 v[6:9], v13 offset0:68 offset1:149
	v_mul_f32_e32 v27, v2, v37
	v_fmac_f32_e32 v27, v3, v36
	s_waitcnt vmcnt(13)
	v_mul_f32_e32 v2, v5, v39
	v_mul_f32_e32 v3, v4, v39
	v_fma_f32 v2, v4, v38, -v2
	v_fmac_f32_e32 v3, v5, v38
	ds_write2_b64 v168, v[26:27], v[2:3] offset0:162 offset1:243
	s_waitcnt vmcnt(12) lgkmcnt(1)
	v_mul_f32_e32 v2, v7, v41
	v_fma_f32 v26, v6, v40, -v2
	ds_read2_b64 v[2:5], v25 offset0:102 offset1:183
	v_mul_f32_e32 v27, v6, v41
	v_fmac_f32_e32 v27, v7, v40
	s_waitcnt vmcnt(11)
	v_mul_f32_e32 v6, v9, v43
	v_mul_f32_e32 v7, v8, v43
	v_fma_f32 v6, v8, v42, -v6
	v_fmac_f32_e32 v7, v9, v42
	ds_write2_b64 v13, v[26:27], v[6:7] offset0:68 offset1:149
	s_waitcnt vmcnt(9) lgkmcnt(1)
	v_mul_f32_e32 v6, v3, v47
	v_fma_f32 v26, v2, v46, -v6
	ds_read2_b64 v[6:9], v15 offset0:136 offset1:217
	v_mul_f32_e32 v27, v2, v47
	v_fmac_f32_e32 v27, v3, v46
	v_mul_f32_e32 v2, v5, v45
	v_mul_f32_e32 v3, v4, v45
	v_fma_f32 v2, v4, v44, -v2
	v_fmac_f32_e32 v3, v5, v44
	ds_write2_b64 v25, v[26:27], v[2:3] offset0:102 offset1:183
	s_waitcnt vmcnt(8) lgkmcnt(1)
	v_mul_f32_e32 v2, v7, v49
	v_fma_f32 v26, v6, v48, -v2
	ds_read2_b64 v[2:5], v11 offset0:42 offset1:123
	v_mul_f32_e32 v27, v6, v49
	v_fmac_f32_e32 v27, v7, v48
	s_waitcnt vmcnt(7)
	v_mul_f32_e32 v6, v9, v53
	v_mul_f32_e32 v7, v8, v53
	v_fma_f32 v6, v8, v52, -v6
	v_fmac_f32_e32 v7, v9, v52
	ds_write2_b64 v15, v[26:27], v[6:7] offset0:136 offset1:217
	s_waitcnt vmcnt(6) lgkmcnt(1)
	v_mul_f32_e32 v6, v3, v55
	v_fma_f32 v26, v2, v54, -v6
	ds_read2_b64 v[6:9], v24 offset0:76 offset1:157
	v_mul_f32_e32 v27, v2, v55
	v_fmac_f32_e32 v27, v3, v54
	s_waitcnt vmcnt(5)
	;; [unrolled: 12-line block ×3, first 2 shown]
	v_mul_f32_e32 v6, v9, v61
	v_mul_f32_e32 v7, v8, v61
	v_fma_f32 v6, v8, v60, -v6
	v_fmac_f32_e32 v7, v9, v60
	ds_write2_b64 v24, v[26:27], v[6:7] offset0:76 offset1:157
	s_waitcnt vmcnt(2) lgkmcnt(1)
	v_mul_f32_e32 v6, v3, v51
	v_mul_f32_e32 v7, v2, v51
	v_fma_f32 v6, v2, v50, -v6
	v_fmac_f32_e32 v7, v3, v50
	ds_read_b64 v[2:3], v168 offset:10368
	s_waitcnt vmcnt(0)
	v_mul_f32_e32 v8, v5, v81
	v_mul_f32_e32 v9, v4, v81
	v_fma_f32 v8, v4, v80, -v8
	v_fmac_f32_e32 v9, v5, v80
	s_waitcnt lgkmcnt(0)
	v_mul_f32_e32 v4, v3, v137
	v_mul_f32_e32 v5, v2, v137
	v_fma_f32 v4, v2, v136, -v4
	v_fmac_f32_e32 v5, v3, v136
	ds_write2_b64 v14, v[6:7], v[8:9] offset0:110 offset1:191
	ds_write_b64 v168, v[4:5] offset:10368
	s_and_saveexec_b64 s[8:9], vcc
	s_cbranch_execz .LBB0_9
; %bb.8:
	global_load_dwordx2 v[6:7], v[0:1], off offset:408
	ds_read2_b64 v[2:5], v168 offset0:51 offset1:132
	v_add_u32_e32 v10, 0x400, v168
	s_waitcnt vmcnt(0) lgkmcnt(0)
	v_mul_f32_e32 v8, v3, v7
	v_mul_f32_e32 v9, v2, v7
	v_fma_f32 v8, v2, v6, -v8
	v_fmac_f32_e32 v9, v3, v6
	global_load_dwordx2 v[2:3], v[0:1], off offset:1056
	s_waitcnt vmcnt(0)
	v_mul_f32_e32 v6, v5, v3
	v_mul_f32_e32 v7, v4, v3
	v_fma_f32 v6, v4, v2, -v6
	v_fmac_f32_e32 v7, v5, v2
	ds_write2_b64 v168, v[8:9], v[6:7] offset0:51 offset1:132
	global_load_dwordx2 v[6:7], v[0:1], off offset:1704
	ds_read2_b64 v[2:5], v10 offset0:85 offset1:166
	s_waitcnt vmcnt(0) lgkmcnt(0)
	v_mul_f32_e32 v8, v3, v7
	v_mul_f32_e32 v9, v2, v7
	v_fma_f32 v8, v2, v6, -v8
	v_fmac_f32_e32 v9, v3, v6
	global_load_dwordx2 v[2:3], v[0:1], off offset:2352
	s_waitcnt vmcnt(0)
	v_mul_f32_e32 v6, v5, v3
	v_mul_f32_e32 v7, v4, v3
	v_fma_f32 v6, v4, v2, -v6
	v_fmac_f32_e32 v7, v5, v2
	ds_write2_b64 v10, v[8:9], v[6:7] offset0:85 offset1:166
	global_load_dwordx2 v[6:7], v[0:1], off offset:3000
	ds_read2_b64 v[2:5], v13 offset0:119 offset1:200
	s_waitcnt vmcnt(0) lgkmcnt(0)
	v_mul_f32_e32 v8, v3, v7
	v_mul_f32_e32 v9, v2, v7
	v_fma_f32 v8, v2, v6, -v8
	v_fmac_f32_e32 v9, v3, v6
	global_load_dwordx2 v[2:3], v[0:1], off offset:3648
	s_waitcnt vmcnt(0)
	v_mul_f32_e32 v6, v5, v3
	v_mul_f32_e32 v7, v4, v3
	v_fma_f32 v6, v4, v2, -v6
	v_fmac_f32_e32 v7, v5, v2
	ds_write2_b64 v13, v[8:9], v[6:7] offset0:119 offset1:200
	v_add_co_u32_e64 v6, s[0:1], s0, v0
	ds_read2_b64 v[2:5], v15 offset0:25 offset1:106
	s_nop 0
	v_addc_co_u32_e64 v7, s[0:1], 0, v1, s[0:1]
	global_load_dwordx2 v[8:9], v[6:7], off offset:200
	s_waitcnt vmcnt(0) lgkmcnt(0)
	v_mul_f32_e32 v10, v3, v9
	v_mul_f32_e32 v27, v2, v9
	v_fma_f32 v26, v2, v8, -v10
	v_fmac_f32_e32 v27, v3, v8
	global_load_dwordx2 v[2:3], v[6:7], off offset:848
	v_add_u32_e32 v10, 0x1400, v168
	s_waitcnt vmcnt(0)
	v_mul_f32_e32 v8, v5, v3
	v_mul_f32_e32 v9, v4, v3
	v_fma_f32 v8, v4, v2, -v8
	v_fmac_f32_e32 v9, v5, v2
	ds_write2_b64 v15, v[26:27], v[8:9] offset0:25 offset1:106
	global_load_dwordx2 v[8:9], v[6:7], off offset:1496
	ds_read2_b64 v[2:5], v10 offset0:59 offset1:140
	s_waitcnt vmcnt(0) lgkmcnt(0)
	v_mul_f32_e32 v12, v3, v9
	v_mul_f32_e32 v27, v2, v9
	v_fma_f32 v26, v2, v8, -v12
	v_fmac_f32_e32 v27, v3, v8
	global_load_dwordx2 v[2:3], v[6:7], off offset:2144
	s_waitcnt vmcnt(0)
	v_mul_f32_e32 v8, v5, v3
	v_mul_f32_e32 v9, v4, v3
	v_fma_f32 v8, v4, v2, -v8
	v_fmac_f32_e32 v9, v5, v2
	ds_write2_b64 v10, v[26:27], v[8:9] offset0:59 offset1:140
	global_load_dwordx2 v[8:9], v[6:7], off offset:2792
	ds_read2_b64 v[2:5], v11 offset0:93 offset1:174
	s_waitcnt vmcnt(0) lgkmcnt(0)
	v_mul_f32_e32 v10, v3, v9
	v_mul_f32_e32 v27, v2, v9
	v_fma_f32 v26, v2, v8, -v10
	v_fmac_f32_e32 v27, v3, v8
	global_load_dwordx2 v[2:3], v[6:7], off offset:3440
	s_waitcnt vmcnt(0)
	v_mul_f32_e32 v8, v5, v3
	global_load_dwordx2 v[6:7], v[6:7], off offset:4088
	v_mul_f32_e32 v9, v4, v3
	v_fma_f32 v8, v4, v2, -v8
	v_fmac_f32_e32 v9, v5, v2
	ds_read2_b64 v[2:5], v24 offset0:127 offset1:208
	ds_write2_b64 v11, v[26:27], v[8:9] offset0:93 offset1:174
	s_waitcnt vmcnt(0) lgkmcnt(1)
	v_mul_f32_e32 v8, v3, v7
	v_mul_f32_e32 v9, v2, v7
	v_fma_f32 v8, v2, v6, -v8
	v_fmac_f32_e32 v9, v3, v6
	v_add_co_u32_e64 v6, s[0:1], s10, v0
	s_nop 1
	v_addc_co_u32_e64 v7, s[0:1], 0, v1, s[0:1]
	global_load_dwordx2 v[0:1], v[6:7], off offset:640
	s_waitcnt vmcnt(0)
	v_mul_f32_e32 v2, v5, v1
	v_mul_f32_e32 v3, v4, v1
	v_fma_f32 v2, v4, v0, -v2
	v_fmac_f32_e32 v3, v5, v0
	global_load_dwordx2 v[4:5], v[6:7], off offset:1288
	ds_write2_b64 v24, v[8:9], v[2:3] offset0:127 offset1:208
	ds_read2_b64 v[0:3], v14 offset0:161 offset1:242
	s_waitcnt vmcnt(0) lgkmcnt(0)
	v_mul_f32_e32 v8, v1, v5
	v_mul_f32_e32 v9, v0, v5
	v_fma_f32 v8, v0, v4, -v8
	v_fmac_f32_e32 v9, v1, v4
	global_load_dwordx2 v[0:1], v[6:7], off offset:1936
	s_waitcnt vmcnt(0)
	v_mul_f32_e32 v4, v3, v1
	v_mul_f32_e32 v5, v2, v1
	v_fma_f32 v4, v2, v0, -v4
	v_fmac_f32_e32 v5, v3, v0
	global_load_dwordx2 v[2:3], v[6:7], off offset:2584
	ds_read_b64 v[0:1], v168 offset:10776
	ds_write2_b64 v14, v[8:9], v[4:5] offset0:161 offset1:242
	s_waitcnt vmcnt(0) lgkmcnt(1)
	v_mul_f32_e32 v4, v1, v3
	v_mul_f32_e32 v5, v0, v3
	v_fma_f32 v4, v0, v2, -v4
	v_fmac_f32_e32 v5, v1, v2
	ds_write_b64 v168, v[4:5] offset:10776
.LBB0_9:
	s_or_b64 exec, exec, s[8:9]
	s_waitcnt lgkmcnt(0)
	; wave barrier
	s_waitcnt lgkmcnt(0)
	ds_read2_b64 v[136:139], v168 offset1:81
	ds_read2_b64 v[160:163], v168 offset0:162 offset1:243
	ds_read2_b64 v[152:155], v13 offset0:68 offset1:149
	;; [unrolled: 1-line block ×7, first 2 shown]
	ds_read_b64 v[0:1], v168 offset:10368
	v_accvgpr_write_b32 a145, v91
	v_accvgpr_write_b32 a141, v87
	;; [unrolled: 1-line block ×20, first 2 shown]
	s_and_saveexec_b64 s[0:1], vcc
	s_cbranch_execz .LBB0_11
; %bb.10:
	v_add_u32_e32 v2, 0x400, v168
	ds_read2_b64 a[154:157], v2 offset0:85 offset1:166
	v_add_u32_e32 v2, 0x800, v168
	ds_read2_b64 a[158:161], v2 offset0:119 offset1:200
	;; [unrolled: 2-line block ×7, first 2 shown]
	ds_read2_b64 a[40:43], v2 offset0:161 offset1:242
	ds_read_b64 a[128:129], v168 offset:10776
.LBB0_11:
	s_or_b64 exec, exec, s[0:1]
	s_waitcnt lgkmcnt(8)
	v_pk_add_f32 v[2:3], v[136:137], v[138:139]
	s_waitcnt lgkmcnt(0)
	v_pk_add_f32 v[40:41], v[138:139], v[0:1] neg_lo:[0,1] neg_hi:[0,1]
	v_pk_add_f32 v[2:3], v[2:3], v[160:161]
	s_mov_b32 s20, 0xbeb8f4ab
	v_pk_add_f32 v[2:3], v[2:3], v[162:163]
	v_pk_add_f32 v[172:173], v[0:1], v[138:139]
	v_pk_add_f32 v[2:3], v[2:3], v[152:153]
	s_mov_b32 s12, 0x3f6eb680
	v_pk_add_f32 v[2:3], v[2:3], v[154:155]
	v_pk_add_f32 v[52:53], v[160:161], v[166:167] neg_lo:[0,1] neg_hi:[0,1]
	v_pk_add_f32 v[2:3], v[2:3], v[144:145]
	s_mov_b32 s36, 0xbf2c7751
	v_pk_add_f32 v[2:3], v[2:3], v[146:147]
	v_pk_add_f32 v[174:175], v[166:167], v[160:161]
	v_pk_add_f32 v[2:3], v[2:3], v[140:141]
	s_mov_b32 s0, 0x3f3d2fb0
	v_pk_add_f32 v[2:3], v[2:3], v[142:143]
	;; [unrolled: 8-line block ×3, first 2 shown]
	v_pk_add_f32 v[218:219], v[152:153], v[158:159] neg_lo:[0,1] neg_hi:[0,1]
	v_pk_add_f32 v[2:3], v[2:3], v[164:165]
	s_mov_b32 s28, 0xbf7ee86f
	v_pk_add_f32 v[2:3], v[2:3], v[166:167]
	v_pk_add_f32 v[216:217], v[158:159], v[152:153]
	;; [unrolled: 1-line block ×3, first 2 shown]
	v_pk_mul_f32 v[0:1], v[40:41], s[20:21] op_sel_hi:[1,0]
	s_mov_b32 s10, 0x3dbcf732
	v_pk_fma_f32 v[2:3], v[172:173], s[12:13], v[0:1] op_sel:[0,0,1] op_sel_hi:[1,0,0]
	v_pk_fma_f32 v[188:189], v[172:173], s[12:13], v[0:1] op_sel:[0,0,1] op_sel_hi:[1,0,0] neg_lo:[0,0,1] neg_hi:[0,0,1]
	v_mov_b32_e32 v0, v2
	v_accvgpr_write_b32 a79, v3
	v_pk_mul_f32 v[2:3], v[52:53], s[36:37] op_sel_hi:[1,0]
	v_mov_b32_e32 v1, v189
	v_pk_fma_f32 v[6:7], v[174:175], s[0:1], v[2:3] op_sel:[0,0,1] op_sel_hi:[1,0,0]
	v_pk_fma_f32 v[194:195], v[174:175], s[0:1], v[2:3] op_sel:[0,0,1] op_sel_hi:[1,0,0] neg_lo:[0,0,1] neg_hi:[0,0,1]
	v_pk_add_f32 v[0:1], v[136:137], v[0:1]
	v_mov_b32_e32 v2, v6
	v_mov_b32_e32 v3, v195
	v_pk_add_f32 v[0:1], v[2:3], v[0:1]
	v_pk_mul_f32 v[2:3], v[210:211], s[44:45] op_sel_hi:[1,0]
	v_accvgpr_write_b32 a85, v7
	v_pk_fma_f32 v[6:7], v[178:179], s[8:9], v[2:3] op_sel:[0,0,1] op_sel_hi:[1,0,0]
	v_pk_fma_f32 v[200:201], v[178:179], s[8:9], v[2:3] op_sel:[0,0,1] op_sel_hi:[1,0,0] neg_lo:[0,0,1] neg_hi:[0,0,1]
	v_mov_b32_e32 v2, v6
	v_mov_b32_e32 v3, v201
	v_pk_add_f32 v[0:1], v[2:3], v[0:1]
	v_pk_mul_f32 v[2:3], v[218:219], s[28:29] op_sel_hi:[1,0]
	v_accvgpr_write_b32 a93, v7
	v_pk_fma_f32 v[6:7], v[216:217], s[10:11], v[2:3] op_sel:[0,0,1] op_sel_hi:[1,0,0]
	v_pk_fma_f32 v[204:205], v[216:217], s[10:11], v[2:3] op_sel:[0,0,1] op_sel_hi:[1,0,0] neg_lo:[0,0,1] neg_hi:[0,0,1]
	v_mov_b32_e32 v2, v6
	v_mov_b32_e32 v3, v205
	v_pk_add_f32 v[240:241], v[154:155], v[156:157] neg_lo:[0,1] neg_hi:[0,1]
	s_mov_b32 s16, 0xbf763a35
	v_pk_add_f32 v[0:1], v[2:3], v[0:1]
	v_pk_add_f32 v[238:239], v[156:157], v[154:155]
	s_mov_b32 s14, 0xbe8c1d8e
	v_pk_mul_f32 v[2:3], v[240:241], s[16:17] op_sel_hi:[1,0]
	v_accvgpr_write_b32 a171, v7
	v_pk_fma_f32 v[6:7], v[238:239], s[14:15], v[2:3] op_sel:[0,0,1] op_sel_hi:[1,0,0]
	v_pk_fma_f32 v[208:209], v[238:239], s[14:15], v[2:3] op_sel:[0,0,1] op_sel_hi:[1,0,0] neg_lo:[0,0,1] neg_hi:[0,0,1]
	v_mov_b32_e32 v2, v6
	v_mov_b32_e32 v3, v209
	v_pk_add_f32 v[244:245], v[144:145], v[150:151] neg_lo:[0,1] neg_hi:[0,1]
	s_mov_b32 s22, 0xbf4c4adb
	v_pk_add_f32 v[0:1], v[2:3], v[0:1]
	v_pk_add_f32 v[242:243], v[150:151], v[144:145]
	s_mov_b32 s18, 0xbf1a4643
	v_pk_mul_f32 v[2:3], v[244:245], s[22:23] op_sel_hi:[1,0]
	v_accvgpr_write_b32 a173, v7
	v_pk_fma_f32 v[6:7], v[242:243], s[18:19], v[2:3] op_sel:[0,0,1] op_sel_hi:[1,0,0]
	v_pk_fma_f32 v[2:3], v[242:243], s[18:19], v[2:3] op_sel:[0,0,1] op_sel_hi:[1,0,0] neg_lo:[0,0,1] neg_hi:[0,0,1]
	v_accvgpr_write_b32 a177, v7
	v_mov_b32_e32 v7, v3
	v_pk_add_f32 v[248:249], v[146:147], v[148:149] neg_lo:[0,1] neg_hi:[0,1]
	s_mov_b32 s26, 0xbf06c442
	v_pk_add_f32 v[0:1], v[6:7], v[0:1]
	v_pk_add_f32 v[246:247], v[148:149], v[146:147]
	s_mov_b32 s24, 0xbf59a7d5
	v_pk_mul_f32 v[6:7], v[248:249], s[26:27] op_sel_hi:[1,0]
	v_pk_add_f32 v[252:253], v[140:141], v[142:143] neg_lo:[0,1] neg_hi:[0,1]
	v_pk_fma_f32 v[8:9], v[246:247], s[24:25], v[6:7] op_sel:[0,0,1] op_sel_hi:[1,0,0]
	v_pk_fma_f32 v[6:7], v[246:247], s[24:25], v[6:7] op_sel:[0,0,1] op_sel_hi:[1,0,0] neg_lo:[0,0,1] neg_hi:[0,0,1]
	v_accvgpr_write_b32 a179, v9
	v_mov_b32_e32 v9, v7
	s_mov_b32 s34, 0xbe3c28d5
	v_pk_add_f32 v[0:1], v[8:9], v[0:1]
	v_pk_add_f32 v[250:251], v[142:143], v[140:141]
	s_mov_b32 s30, 0xbf7ba420
	v_pk_mul_f32 v[8:9], v[252:253], s[34:35] op_sel_hi:[1,0]
	s_nop 0
	v_pk_fma_f32 v[10:11], v[250:251], s[30:31], v[8:9] op_sel:[0,0,1] op_sel_hi:[1,0,0]
	v_pk_fma_f32 v[214:215], v[250:251], s[30:31], v[8:9] op_sel:[0,0,1] op_sel_hi:[1,0,0] neg_lo:[0,0,1] neg_hi:[0,0,1]
	v_mov_b32_e32 v8, v10
	v_mov_b32_e32 v9, v215
	v_pk_add_f32 v[0:1], v[8:9], v[0:1]
	; wave barrier
	ds_write2_b64 v169, v[4:5], v[0:1] offset1:1
	v_pk_mul_f32 v[0:1], v[40:41], s[36:37] op_sel_hi:[1,0]
	v_accvgpr_write_b32 a181, v11
	v_pk_fma_f32 v[4:5], v[172:173], s[0:1], v[0:1] op_sel:[0,0,1] op_sel_hi:[1,0,0]
	v_pk_fma_f32 v[170:171], v[172:173], s[0:1], v[0:1] op_sel:[0,0,1] op_sel_hi:[1,0,0] neg_lo:[0,0,1] neg_hi:[0,0,1]
	v_mov_b32_e32 v0, v4
	v_mov_b32_e32 v195, v5
	v_pk_mul_f32 v[4:5], v[52:53], s[28:29] op_sel_hi:[1,0]
	v_mov_b32_e32 v1, v171
	v_pk_fma_f32 v[8:9], v[174:175], s[10:11], v[4:5] op_sel:[0,0,1] op_sel_hi:[1,0,0]
	v_pk_fma_f32 v[198:199], v[174:175], s[10:11], v[4:5] op_sel:[0,0,1] op_sel_hi:[1,0,0] neg_lo:[0,0,1] neg_hi:[0,0,1]
	v_pk_add_f32 v[0:1], v[136:137], v[0:1]
	v_mov_b32_e32 v4, v8
	v_mov_b32_e32 v5, v199
	v_pk_add_f32 v[0:1], v[4:5], v[0:1]
	v_pk_mul_f32 v[4:5], v[210:211], s[22:23] op_sel_hi:[1,0]
	v_mov_b32_e32 v189, v9
	v_pk_fma_f32 v[8:9], v[178:179], s[18:19], v[4:5] op_sel:[0,0,1] op_sel_hi:[1,0,0]
	v_pk_fma_f32 v[10:11], v[178:179], s[18:19], v[4:5] op_sel:[0,0,1] op_sel_hi:[1,0,0] neg_lo:[0,0,1] neg_hi:[0,0,1]
	v_mov_b32_e32 v4, v8
	v_mov_b32_e32 v5, v11
	v_pk_add_f32 v[0:1], v[4:5], v[0:1]
	v_pk_mul_f32 v[4:5], v[218:219], s[34:35] op_sel_hi:[1,0]
	v_mov_b32_e32 v3, v9
	v_pk_fma_f32 v[8:9], v[216:217], s[30:31], v[4:5] op_sel:[0,0,1] op_sel_hi:[1,0,0]
	v_pk_fma_f32 v[202:203], v[216:217], s[30:31], v[4:5] op_sel:[0,0,1] op_sel_hi:[1,0,0] neg_lo:[0,0,1] neg_hi:[0,0,1]
	v_mov_b32_e32 v4, v8
	v_mov_b32_e32 v5, v203
	s_mov_b32 s50, 0x3f06c442
	v_pk_add_f32 v[4:5], v[4:5], v[0:1]
	v_pk_mul_f32 v[0:1], v[240:241], s[50:51] op_sel_hi:[1,0]
	v_mov_b32_e32 v7, v9
	v_pk_fma_f32 v[8:9], v[238:239], s[24:25], v[0:1] op_sel:[0,0,1] op_sel_hi:[1,0,0]
	v_pk_fma_f32 v[0:1], v[238:239], s[24:25], v[0:1] op_sel:[0,0,1] op_sel_hi:[1,0,0] neg_lo:[0,0,1] neg_hi:[0,0,1]
	v_mov_b32_e32 v201, v9
	v_mov_b32_e32 v9, v1
	s_mov_b32 s46, 0x3f763a35
	v_pk_add_f32 v[8:9], v[8:9], v[4:5]
	v_pk_mul_f32 v[4:5], v[244:245], s[46:47] op_sel_hi:[1,0]
	s_mov_b32 s38, 0x3f65296c
	v_pk_fma_f32 v[12:13], v[242:243], s[14:15], v[4:5] op_sel:[0,0,1] op_sel_hi:[1,0,0]
	v_pk_fma_f32 v[4:5], v[242:243], s[14:15], v[4:5] op_sel:[0,0,1] op_sel_hi:[1,0,0] neg_lo:[0,0,1] neg_hi:[0,0,1]
	v_mov_b32_e32 v205, v13
	v_mov_b32_e32 v13, v5
	v_pk_add_f32 v[12:13], v[12:13], v[8:9]
	v_pk_mul_f32 v[8:9], v[248:249], s[38:39] op_sel_hi:[1,0]
	s_mov_b32 s40, 0x3eb8f4ab
	v_pk_fma_f32 v[14:15], v[246:247], s[8:9], v[8:9] op_sel:[0,0,1] op_sel_hi:[1,0,0]
	v_pk_fma_f32 v[8:9], v[246:247], s[8:9], v[8:9] op_sel:[0,0,1] op_sel_hi:[1,0,0] neg_lo:[0,0,1] neg_hi:[0,0,1]
	v_mov_b32_e32 v209, v15
	v_mov_b32_e32 v15, v9
	v_pk_add_f32 v[12:13], v[14:15], v[12:13]
	v_pk_mul_f32 v[14:15], v[252:253], s[40:41] op_sel_hi:[1,0]
	v_pk_mul_f32 v[24:25], v[52:53], s[22:23] op_sel_hi:[1,0]
	v_pk_fma_f32 v[212:213], v[250:251], s[12:13], v[14:15] op_sel:[0,0,1] op_sel_hi:[1,0,0]
	v_pk_fma_f32 v[190:191], v[250:251], s[12:13], v[14:15] op_sel:[0,0,1] op_sel_hi:[1,0,0] neg_lo:[0,0,1] neg_hi:[0,0,1]
	v_mov_b32_e32 v14, v212
	v_mov_b32_e32 v15, v191
	v_pk_add_f32 v[12:13], v[14:15], v[12:13]
	v_pk_mul_f32 v[14:15], v[40:41], s[44:45] op_sel_hi:[1,0]
	v_pk_fma_f32 v[144:145], v[174:175], s[18:19], v[24:25] op_sel:[0,0,1] op_sel_hi:[1,0,0]
	v_pk_fma_f32 v[142:143], v[172:173], s[8:9], v[14:15] op_sel:[0,0,1] op_sel_hi:[1,0,0]
	v_pk_fma_f32 v[138:139], v[172:173], s[8:9], v[14:15] op_sel:[0,0,1] op_sel_hi:[1,0,0] neg_lo:[0,0,1] neg_hi:[0,0,1]
	v_mov_b32_e32 v14, v142
	v_mov_b32_e32 v15, v139
	v_pk_fma_f32 v[206:207], v[174:175], s[18:19], v[24:25] op_sel:[0,0,1] op_sel_hi:[1,0,0] neg_lo:[0,0,1] neg_hi:[0,0,1]
	v_pk_add_f32 v[14:15], v[136:137], v[14:15]
	v_mov_b32_e32 v24, v144
	v_mov_b32_e32 v25, v207
	s_mov_b32 s54, 0x3e3c28d5
	v_pk_add_f32 v[14:15], v[24:25], v[14:15]
	v_pk_mul_f32 v[24:25], v[210:211], s[54:55] op_sel_hi:[1,0]
	s_mov_b32 s42, 0x3f2c7751
	v_pk_fma_f32 v[152:153], v[178:179], s[30:31], v[24:25] op_sel:[0,0,1] op_sel_hi:[1,0,0]
	v_pk_fma_f32 v[146:147], v[178:179], s[30:31], v[24:25] op_sel:[0,0,1] op_sel_hi:[1,0,0] neg_lo:[0,0,1] neg_hi:[0,0,1]
	v_mov_b32_e32 v24, v152
	v_mov_b32_e32 v25, v147
	v_pk_add_f32 v[14:15], v[24:25], v[14:15]
	v_pk_mul_f32 v[24:25], v[218:219], s[46:47] op_sel_hi:[1,0]
	s_mov_b32 s52, 0x3f4c4adb
	v_pk_fma_f32 v[154:155], v[216:217], s[14:15], v[24:25] op_sel:[0,0,1] op_sel_hi:[1,0,0]
	v_pk_fma_f32 v[158:159], v[216:217], s[14:15], v[24:25] op_sel:[0,0,1] op_sel_hi:[1,0,0] neg_lo:[0,0,1] neg_hi:[0,0,1]
	v_mov_b32_e32 v24, v154
	v_mov_b32_e32 v25, v159
	v_pk_add_f32 v[14:15], v[24:25], v[14:15]
	v_pk_mul_f32 v[24:25], v[240:241], s[42:43] op_sel_hi:[1,0]
	s_mov_b32 s48, 0x3f7ee86f
	v_pk_fma_f32 v[156:157], v[238:239], s[0:1], v[24:25] op_sel:[0,0,1] op_sel_hi:[1,0,0]
	v_pk_fma_f32 v[148:149], v[238:239], s[0:1], v[24:25] op_sel:[0,0,1] op_sel_hi:[1,0,0] neg_lo:[0,0,1] neg_hi:[0,0,1]
	v_mov_b32_e32 v24, v156
	v_mov_b32_e32 v25, v149
	v_pk_add_f32 v[14:15], v[24:25], v[14:15]
	v_pk_mul_f32 v[24:25], v[244:245], s[20:21] op_sel_hi:[1,0]
	v_pk_mul_f32 v[66:67], v[252:253], s[22:23] op_sel_hi:[1,0]
	v_pk_fma_f32 v[164:165], v[242:243], s[12:13], v[24:25] op_sel:[0,0,1] op_sel_hi:[1,0,0]
	v_pk_fma_f32 v[150:151], v[242:243], s[12:13], v[24:25] op_sel:[0,0,1] op_sel_hi:[1,0,0] neg_lo:[0,0,1] neg_hi:[0,0,1]
	v_mov_b32_e32 v24, v164
	v_mov_b32_e32 v25, v151
	v_pk_add_f32 v[14:15], v[24:25], v[14:15]
	v_pk_mul_f32 v[24:25], v[248:249], s[28:29] op_sel_hi:[1,0]
	v_pk_mul_f32 v[68:69], v[52:53], s[46:47] op_sel_hi:[1,0]
	v_pk_fma_f32 v[192:193], v[246:247], s[10:11], v[24:25] op_sel:[0,0,1] op_sel_hi:[1,0,0]
	v_pk_fma_f32 v[160:161], v[246:247], s[10:11], v[24:25] op_sel:[0,0,1] op_sel_hi:[1,0,0] neg_lo:[0,0,1] neg_hi:[0,0,1]
	v_mov_b32_e32 v24, v192
	v_mov_b32_e32 v25, v161
	v_pk_add_f32 v[14:15], v[24:25], v[14:15]
	v_pk_mul_f32 v[24:25], v[252:253], s[26:27] op_sel_hi:[1,0]
	v_pk_fma_f32 v[72:73], v[174:175], s[14:15], v[68:69] op_sel:[0,0,1] op_sel_hi:[1,0,0]
	v_pk_fma_f32 v[196:197], v[250:251], s[24:25], v[24:25] op_sel:[0,0,1] op_sel_hi:[1,0,0]
	v_pk_fma_f32 v[162:163], v[250:251], s[24:25], v[24:25] op_sel:[0,0,1] op_sel_hi:[1,0,0] neg_lo:[0,0,1] neg_hi:[0,0,1]
	v_mov_b32_e32 v24, v196
	v_mov_b32_e32 v25, v163
	v_pk_add_f32 v[14:15], v[24:25], v[14:15]
	ds_write2_b64 v169, v[12:13], v[14:15] offset0:2 offset1:3
	v_pk_mul_f32 v[12:13], v[40:41], s[28:29] op_sel_hi:[1,0]
	v_pk_mul_f32 v[14:15], v[52:53], s[34:35] op_sel_hi:[1,0]
	v_pk_fma_f32 v[236:237], v[172:173], s[10:11], v[12:13] op_sel:[0,0,1] op_sel_hi:[1,0,0]
	v_pk_fma_f32 v[180:181], v[172:173], s[10:11], v[12:13] op_sel:[0,0,1] op_sel_hi:[1,0,0] neg_lo:[0,0,1] neg_hi:[0,0,1]
	v_mov_b32_e32 v12, v236
	v_mov_b32_e32 v13, v181
	v_pk_fma_f32 v[42:43], v[174:175], s[30:31], v[14:15] op_sel:[0,0,1] op_sel_hi:[1,0,0]
	v_pk_fma_f32 v[234:235], v[174:175], s[30:31], v[14:15] op_sel:[0,0,1] op_sel_hi:[1,0,0] neg_lo:[0,0,1] neg_hi:[0,0,1]
	v_pk_add_f32 v[12:13], v[136:137], v[12:13]
	v_mov_b32_e32 v14, v42
	v_mov_b32_e32 v15, v235
	v_pk_add_f32 v[12:13], v[14:15], v[12:13]
	v_pk_mul_f32 v[14:15], v[210:211], s[46:47] op_sel_hi:[1,0]
	v_pk_fma_f32 v[68:69], v[174:175], s[14:15], v[68:69] op_sel:[0,0,1] op_sel_hi:[1,0,0] neg_lo:[0,0,1] neg_hi:[0,0,1]
	v_pk_fma_f32 v[94:95], v[178:179], s[14:15], v[14:15] op_sel:[0,0,1] op_sel_hi:[1,0,0]
	v_pk_fma_f32 v[176:177], v[178:179], s[14:15], v[14:15] op_sel:[0,0,1] op_sel_hi:[1,0,0] neg_lo:[0,0,1] neg_hi:[0,0,1]
	v_mov_b32_e32 v14, v94
	v_mov_b32_e32 v15, v177
	v_pk_add_f32 v[12:13], v[14:15], v[12:13]
	v_pk_mul_f32 v[14:15], v[218:219], s[40:41] op_sel_hi:[1,0]
	v_mov_b32_e32 v70, v72
	v_pk_fma_f32 v[140:141], v[216:217], s[12:13], v[14:15] op_sel:[0,0,1] op_sel_hi:[1,0,0]
	v_pk_fma_f32 v[166:167], v[216:217], s[12:13], v[14:15] op_sel:[0,0,1] op_sel_hi:[1,0,0] neg_lo:[0,0,1] neg_hi:[0,0,1]
	v_mov_b32_e32 v14, v140
	v_mov_b32_e32 v15, v167
	v_pk_add_f32 v[12:13], v[14:15], v[12:13]
	v_pk_mul_f32 v[14:15], v[240:241], s[44:45] op_sel_hi:[1,0]
	v_mov_b32_e32 v71, v69
	v_pk_fma_f32 v[220:221], v[238:239], s[8:9], v[14:15] op_sel:[0,0,1] op_sel_hi:[1,0,0]
	v_pk_fma_f32 v[222:223], v[238:239], s[8:9], v[14:15] op_sel:[0,0,1] op_sel_hi:[1,0,0] neg_lo:[0,0,1] neg_hi:[0,0,1]
	v_mov_b32_e32 v14, v220
	v_mov_b32_e32 v15, v223
	v_pk_add_f32 v[12:13], v[14:15], v[12:13]
	v_pk_mul_f32 v[14:15], v[244:245], s[26:27] op_sel_hi:[1,0]
	v_pk_mul_f32 v[86:87], v[244:245], s[36:37] op_sel_hi:[1,0]
	v_pk_fma_f32 v[224:225], v[242:243], s[24:25], v[14:15] op_sel:[0,0,1] op_sel_hi:[1,0,0]
	v_pk_fma_f32 v[226:227], v[242:243], s[24:25], v[14:15] op_sel:[0,0,1] op_sel_hi:[1,0,0] neg_lo:[0,0,1] neg_hi:[0,0,1]
	v_mov_b32_e32 v14, v224
	v_mov_b32_e32 v15, v227
	v_pk_add_f32 v[12:13], v[14:15], v[12:13]
	v_pk_mul_f32 v[14:15], v[248:249], s[52:53] op_sel_hi:[1,0]
	v_pk_fma_f32 v[88:89], v[242:243], s[0:1], v[86:87] op_sel:[0,0,1] op_sel_hi:[1,0,0]
	v_pk_fma_f32 v[228:229], v[246:247], s[18:19], v[14:15] op_sel:[0,0,1] op_sel_hi:[1,0,0]
	v_pk_fma_f32 v[230:231], v[246:247], s[18:19], v[14:15] op_sel:[0,0,1] op_sel_hi:[1,0,0] neg_lo:[0,0,1] neg_hi:[0,0,1]
	v_mov_b32_e32 v14, v228
	v_mov_b32_e32 v15, v231
	v_pk_add_f32 v[12:13], v[14:15], v[12:13]
	v_pk_mul_f32 v[14:15], v[252:253], s[42:43] op_sel_hi:[1,0]
	v_pk_fma_f32 v[86:87], v[242:243], s[0:1], v[86:87] op_sel:[0,0,1] op_sel_hi:[1,0,0] neg_lo:[0,0,1] neg_hi:[0,0,1]
	v_pk_fma_f32 v[232:233], v[250:251], s[0:1], v[14:15] op_sel:[0,0,1] op_sel_hi:[1,0,0]
	v_pk_fma_f32 v[54:55], v[250:251], s[0:1], v[14:15] op_sel:[0,0,1] op_sel_hi:[1,0,0] neg_lo:[0,0,1] neg_hi:[0,0,1]
	v_mov_b32_e32 v14, v232
	v_mov_b32_e32 v15, v55
	v_pk_add_f32 v[62:63], v[14:15], v[12:13]
	v_pk_mul_f32 v[12:13], v[40:41], s[16:17] op_sel_hi:[1,0]
	v_pk_mul_f32 v[14:15], v[52:53], s[50:51] op_sel_hi:[1,0]
	v_pk_fma_f32 v[38:39], v[172:173], s[14:15], v[12:13] op_sel:[0,0,1] op_sel_hi:[1,0,0]
	v_pk_fma_f32 v[254:255], v[172:173], s[14:15], v[12:13] op_sel:[0,0,1] op_sel_hi:[1,0,0] neg_lo:[0,0,1] neg_hi:[0,0,1]
	v_mov_b32_e32 v12, v38
	v_mov_b32_e32 v13, v255
	v_pk_fma_f32 v[58:59], v[174:175], s[24:25], v[14:15] op_sel:[0,0,1] op_sel_hi:[1,0,0]
	v_pk_fma_f32 v[56:57], v[174:175], s[24:25], v[14:15] op_sel:[0,0,1] op_sel_hi:[1,0,0] neg_lo:[0,0,1] neg_hi:[0,0,1]
	v_pk_add_f32 v[12:13], v[136:137], v[12:13]
	v_mov_b32_e32 v14, v58
	v_mov_b32_e32 v15, v57
	v_pk_add_f32 v[12:13], v[14:15], v[12:13]
	v_pk_mul_f32 v[14:15], v[210:211], s[42:43] op_sel_hi:[1,0]
	v_pk_mul_f32 v[90:91], v[248:249], s[34:35] op_sel_hi:[1,0]
	v_pk_fma_f32 v[60:61], v[178:179], s[0:1], v[14:15] op_sel:[0,0,1] op_sel_hi:[1,0,0]
	v_pk_fma_f32 v[36:37], v[178:179], s[0:1], v[14:15] op_sel:[0,0,1] op_sel_hi:[1,0,0] neg_lo:[0,0,1] neg_hi:[0,0,1]
	v_mov_b32_e32 v14, v60
	v_mov_b32_e32 v15, v37
	v_pk_add_f32 v[12:13], v[14:15], v[12:13]
	v_pk_mul_f32 v[14:15], v[218:219], s[44:45] op_sel_hi:[1,0]
	v_pk_fma_f32 v[92:93], v[246:247], s[30:31], v[90:91] op_sel:[0,0,1] op_sel_hi:[1,0,0]
	v_pk_fma_f32 v[26:27], v[216:217], s[8:9], v[14:15] op_sel:[0,0,1] op_sel_hi:[1,0,0]
	v_pk_fma_f32 v[24:25], v[216:217], s[8:9], v[14:15] op_sel:[0,0,1] op_sel_hi:[1,0,0] neg_lo:[0,0,1] neg_hi:[0,0,1]
	v_mov_b32_e32 v14, v26
	v_mov_b32_e32 v15, v25
	v_pk_add_f32 v[44:45], v[14:15], v[12:13]
	v_pk_mul_f32 v[12:13], v[240:241], s[34:35] op_sel_hi:[1,0]
	v_pk_fma_f32 v[90:91], v[246:247], s[30:31], v[90:91] op_sel:[0,0,1] op_sel_hi:[1,0,0] neg_lo:[0,0,1] neg_hi:[0,0,1]
	v_pk_fma_f32 v[14:15], v[238:239], s[30:31], v[12:13] op_sel:[0,0,1] op_sel_hi:[1,0,0]
	v_pk_fma_f32 v[12:13], v[238:239], s[30:31], v[12:13] op_sel:[0,0,1] op_sel_hi:[1,0,0] neg_lo:[0,0,1] neg_hi:[0,0,1]
	v_mov_b32_e32 v46, v14
	v_mov_b32_e32 v47, v13
	v_pk_add_f32 v[48:49], v[46:47], v[44:45]
	v_pk_mul_f32 v[44:45], v[244:245], s[48:49] op_sel_hi:[1,0]
	v_mov_b32_e32 v255, v39
	v_pk_fma_f32 v[46:47], v[242:243], s[10:11], v[44:45] op_sel:[0,0,1] op_sel_hi:[1,0,0]
	v_pk_fma_f32 v[44:45], v[242:243], s[10:11], v[44:45] op_sel:[0,0,1] op_sel_hi:[1,0,0] neg_lo:[0,0,1] neg_hi:[0,0,1]
	v_mov_b32_e32 v50, v46
	v_mov_b32_e32 v51, v45
	v_pk_add_f32 v[80:81], v[50:51], v[48:49]
	v_pk_mul_f32 v[48:49], v[248:249], s[20:21] op_sel_hi:[1,0]
	v_mov_b32_e32 v181, v237
	v_pk_fma_f32 v[50:51], v[246:247], s[12:13], v[48:49] op_sel:[0,0,1] op_sel_hi:[1,0,0]
	v_pk_fma_f32 v[48:49], v[246:247], s[12:13], v[48:49] op_sel:[0,0,1] op_sel_hi:[1,0,0] neg_lo:[0,0,1] neg_hi:[0,0,1]
	v_mov_b32_e32 v82, v50
	v_mov_b32_e32 v83, v49
	v_pk_add_f32 v[64:65], v[82:83], v[80:81]
	v_pk_fma_f32 v[82:83], v[250:251], s[18:19], v[66:67] op_sel:[0,0,1] op_sel_hi:[1,0,0]
	v_pk_fma_f32 v[80:81], v[250:251], s[18:19], v[66:67] op_sel:[0,0,1] op_sel_hi:[1,0,0] neg_lo:[0,0,1] neg_hi:[0,0,1]
	v_mov_b32_e32 v66, v82
	v_mov_b32_e32 v67, v81
	v_pk_add_f32 v[64:65], v[66:67], v[64:65]
	ds_write2_b64 v169, v[62:63], v[64:65] offset0:4 offset1:5
	v_pk_mul_f32 v[62:63], v[40:41], s[22:23] op_sel_hi:[1,0]
	v_mov_b32_e32 v57, v59
	v_pk_fma_f32 v[64:65], v[172:173], s[18:19], v[62:63] op_sel:[0,0,1] op_sel_hi:[1,0,0]
	v_pk_fma_f32 v[62:63], v[172:173], s[18:19], v[62:63] op_sel:[0,0,1] op_sel_hi:[1,0,0] neg_lo:[0,0,1] neg_hi:[0,0,1]
	v_mov_b32_e32 v66, v64
	v_mov_b32_e32 v67, v63
	v_pk_add_f32 v[66:67], v[136:137], v[66:67]
	v_pk_add_f32 v[38:39], v[136:137], v[254:255]
	;; [unrolled: 1-line block ×3, first 2 shown]
	v_pk_mul_f32 v[70:71], v[210:211], s[20:21] op_sel_hi:[1,0]
	v_mov_b32_e32 v13, v15
	v_pk_fma_f32 v[76:77], v[178:179], s[12:13], v[70:71] op_sel:[0,0,1] op_sel_hi:[1,0,0]
	v_pk_fma_f32 v[70:71], v[178:179], s[12:13], v[70:71] op_sel:[0,0,1] op_sel_hi:[1,0,0] neg_lo:[0,0,1] neg_hi:[0,0,1]
	v_mov_b32_e32 v74, v76
	v_mov_b32_e32 v75, v71
	v_pk_add_f32 v[66:67], v[74:75], v[66:67]
	v_pk_mul_f32 v[74:75], v[218:219], s[26:27] op_sel_hi:[1,0]
	v_mov_b32_e32 v235, v43
	v_pk_fma_f32 v[124:125], v[216:217], s[24:25], v[74:75] op_sel:[0,0,1] op_sel_hi:[1,0,0]
	v_pk_fma_f32 v[74:75], v[216:217], s[24:25], v[74:75] op_sel:[0,0,1] op_sel_hi:[1,0,0] neg_lo:[0,0,1] neg_hi:[0,0,1]
	v_mov_b32_e32 v78, v124
	v_mov_b32_e32 v79, v75
	v_pk_add_f32 v[66:67], v[78:79], v[66:67]
	v_pk_mul_f32 v[78:79], v[240:241], s[48:49] op_sel_hi:[1,0]
	v_pk_add_f32 v[14:15], v[136:137], v[180:181]
	v_pk_fma_f32 v[84:85], v[238:239], s[10:11], v[78:79] op_sel:[0,0,1] op_sel_hi:[1,0,0]
	v_pk_fma_f32 v[78:79], v[238:239], s[10:11], v[78:79] op_sel:[0,0,1] op_sel_hi:[1,0,0] neg_lo:[0,0,1] neg_hi:[0,0,1]
	v_mov_b32_e32 v126, v84
	v_mov_b32_e32 v127, v79
	v_pk_add_f32 v[66:67], v[126:127], v[66:67]
	v_mov_b32_e32 v126, v88
	v_mov_b32_e32 v127, v87
	v_pk_add_f32 v[66:67], v[126:127], v[66:67]
	v_mov_b32_e32 v126, v92
	v_mov_b32_e32 v127, v91
	v_pk_add_f32 v[66:67], v[126:127], v[66:67]
	v_pk_mul_f32 v[126:127], v[252:253], s[38:39] op_sel_hi:[1,0]
	v_pk_add_f32 v[38:39], v[56:57], v[38:39]
	v_pk_fma_f32 v[184:185], v[250:251], s[8:9], v[126:127] op_sel:[0,0,1] op_sel_hi:[1,0,0]
	v_pk_fma_f32 v[126:127], v[250:251], s[8:9], v[126:127] op_sel:[0,0,1] op_sel_hi:[1,0,0] neg_lo:[0,0,1] neg_hi:[0,0,1]
	v_mov_b32_e32 v182, v184
	v_mov_b32_e32 v183, v127
	v_pk_add_f32 v[66:67], v[182:183], v[66:67]
	v_pk_mul_f32 v[182:183], v[40:41], s[26:27] op_sel_hi:[1,0]
	v_pk_mul_f32 v[40:41], v[40:41], s[34:35] op_sel_hi:[1,0]
	v_pk_fma_f32 v[96:97], v[172:173], s[24:25], v[182:183] op_sel:[0,0,1] op_sel_hi:[1,0,0]
	v_pk_fma_f32 v[182:183], v[172:173], s[24:25], v[182:183] op_sel:[0,0,1] op_sel_hi:[1,0,0] neg_lo:[0,0,1] neg_hi:[0,0,1]
	v_mov_b32_e32 v186, v96
	v_mov_b32_e32 v187, v183
	v_pk_add_f32 v[98:99], v[136:137], v[186:187]
	v_pk_mul_f32 v[186:187], v[52:53], s[38:39] op_sel_hi:[1,0]
	v_pk_mul_f32 v[52:53], v[52:53], s[40:41] op_sel_hi:[1,0]
	v_pk_fma_f32 v[100:101], v[174:175], s[8:9], v[186:187] op_sel:[0,0,1] op_sel_hi:[1,0,0]
	v_pk_fma_f32 v[102:103], v[174:175], s[8:9], v[186:187] op_sel:[0,0,1] op_sel_hi:[1,0,0] neg_lo:[0,0,1] neg_hi:[0,0,1]
	v_mov_b32_e32 v186, v100
	v_mov_b32_e32 v187, v103
	v_pk_add_f32 v[98:99], v[186:187], v[98:99]
	v_pk_mul_f32 v[186:187], v[210:211], s[28:29] op_sel_hi:[1,0]
	v_mov_b32_e32 v37, v61
	v_pk_fma_f32 v[104:105], v[178:179], s[10:11], v[186:187] op_sel:[0,0,1] op_sel_hi:[1,0,0]
	v_pk_fma_f32 v[106:107], v[178:179], s[10:11], v[186:187] op_sel:[0,0,1] op_sel_hi:[1,0,0] neg_lo:[0,0,1] neg_hi:[0,0,1]
	v_mov_b32_e32 v186, v104
	v_mov_b32_e32 v187, v107
	v_pk_add_f32 v[98:99], v[186:187], v[98:99]
	v_pk_mul_f32 v[186:187], v[218:219], s[52:53] op_sel_hi:[1,0]
	v_pk_add_f32 v[14:15], v[234:235], v[14:15]
	v_pk_fma_f32 v[108:109], v[216:217], s[18:19], v[186:187] op_sel:[0,0,1] op_sel_hi:[1,0,0]
	v_pk_fma_f32 v[110:111], v[216:217], s[18:19], v[186:187] op_sel:[0,0,1] op_sel_hi:[1,0,0] neg_lo:[0,0,1] neg_hi:[0,0,1]
	v_mov_b32_e32 v186, v108
	v_mov_b32_e32 v187, v111
	v_pk_add_f32 v[98:99], v[186:187], v[98:99]
	v_pk_mul_f32 v[186:187], v[240:241], s[20:21] op_sel_hi:[1,0]
	v_mov_b32_e32 v177, v95
	v_pk_fma_f32 v[112:113], v[238:239], s[12:13], v[186:187] op_sel:[0,0,1] op_sel_hi:[1,0,0]
	v_pk_fma_f32 v[114:115], v[238:239], s[12:13], v[186:187] op_sel:[0,0,1] op_sel_hi:[1,0,0] neg_lo:[0,0,1] neg_hi:[0,0,1]
	v_mov_b32_e32 v186, v112
	v_mov_b32_e32 v187, v115
	v_pk_add_f32 v[98:99], v[186:187], v[98:99]
	v_pk_mul_f32 v[186:187], v[244:245], s[34:35] op_sel_hi:[1,0]
	v_mov_b32_e32 v183, v97
	v_pk_fma_f32 v[128:129], v[242:243], s[30:31], v[186:187] op_sel:[0,0,1] op_sel_hi:[1,0,0]
	v_pk_fma_f32 v[130:131], v[242:243], s[30:31], v[186:187] op_sel:[0,0,1] op_sel_hi:[1,0,0] neg_lo:[0,0,1] neg_hi:[0,0,1]
	v_mov_b32_e32 v186, v128
	v_mov_b32_e32 v187, v131
	v_pk_add_f32 v[98:99], v[186:187], v[98:99]
	v_pk_mul_f32 v[186:187], v[248:249], s[42:43] op_sel_hi:[1,0]
	v_pk_add_f32 v[36:37], v[36:37], v[38:39]
	v_pk_fma_f32 v[132:133], v[246:247], s[0:1], v[186:187] op_sel:[0,0,1] op_sel_hi:[1,0,0]
	v_pk_fma_f32 v[134:135], v[246:247], s[0:1], v[186:187] op_sel:[0,0,1] op_sel_hi:[1,0,0] neg_lo:[0,0,1] neg_hi:[0,0,1]
	v_mov_b32_e32 v186, v132
	v_mov_b32_e32 v187, v135
	v_pk_add_f32 v[98:99], v[186:187], v[98:99]
	v_pk_mul_f32 v[186:187], v[252:253], s[16:17] op_sel_hi:[1,0]
	v_mov_b32_e32 v25, v27
	v_pk_fma_f32 v[120:121], v[250:251], s[14:15], v[186:187] op_sel:[0,0,1] op_sel_hi:[1,0,0]
	v_pk_fma_f32 v[122:123], v[250:251], s[14:15], v[186:187] op_sel:[0,0,1] op_sel_hi:[1,0,0] neg_lo:[0,0,1] neg_hi:[0,0,1]
	v_mov_b32_e32 v186, v120
	v_mov_b32_e32 v187, v123
	v_pk_add_f32 v[98:99], v[186:187], v[98:99]
	ds_write2_b64 v169, v[66:67], v[98:99] offset0:6 offset1:7
	v_pk_fma_f32 v[66:67], v[172:173], s[30:31], v[40:41] op_sel:[0,0,1] op_sel_hi:[1,0,0]
	v_pk_fma_f32 v[40:41], v[172:173], s[30:31], v[40:41] op_sel:[0,0,1] op_sel_hi:[1,0,0] neg_lo:[0,0,1] neg_hi:[0,0,1]
	v_pk_fma_f32 v[98:99], v[174:175], s[12:13], v[52:53] op_sel:[0,0,1] op_sel_hi:[1,0,0]
	v_pk_fma_f32 v[52:53], v[174:175], s[12:13], v[52:53] op_sel:[0,0,1] op_sel_hi:[1,0,0] neg_lo:[0,0,1] neg_hi:[0,0,1]
	v_mov_b32_e32 v172, v66
	v_mov_b32_e32 v173, v41
	v_pk_add_f32 v[172:173], v[136:137], v[172:173]
	v_mov_b32_e32 v174, v98
	v_mov_b32_e32 v175, v53
	v_pk_add_f32 v[172:173], v[174:175], v[172:173]
	v_pk_mul_f32 v[174:175], v[210:211], s[26:27] op_sel_hi:[1,0]
	v_mov_b32_e32 v41, v67
	v_pk_fma_f32 v[186:187], v[178:179], s[24:25], v[174:175] op_sel:[0,0,1] op_sel_hi:[1,0,0]
	v_pk_fma_f32 v[174:175], v[178:179], s[24:25], v[174:175] op_sel:[0,0,1] op_sel_hi:[1,0,0] neg_lo:[0,0,1] neg_hi:[0,0,1]
	v_mov_b32_e32 v178, v186
	v_mov_b32_e32 v179, v175
	v_pk_add_f32 v[172:173], v[178:179], v[172:173]
	v_pk_mul_f32 v[178:179], v[218:219], s[42:43] op_sel_hi:[1,0]
	v_mov_b32_e32 v53, v99
	v_pk_fma_f32 v[210:211], v[216:217], s[0:1], v[178:179] op_sel:[0,0,1] op_sel_hi:[1,0,0]
	v_pk_fma_f32 v[178:179], v[216:217], s[0:1], v[178:179] op_sel:[0,0,1] op_sel_hi:[1,0,0] neg_lo:[0,0,1] neg_hi:[0,0,1]
	v_mov_b32_e32 v216, v210
	v_mov_b32_e32 v217, v179
	v_pk_add_f32 v[172:173], v[216:217], v[172:173]
	v_pk_mul_f32 v[216:217], v[240:241], s[22:23] op_sel_hi:[1,0]
	v_pk_add_f32 v[40:41], v[136:137], v[40:41]
	v_pk_fma_f32 v[218:219], v[238:239], s[18:19], v[216:217] op_sel:[0,0,1] op_sel_hi:[1,0,0]
	v_pk_fma_f32 v[216:217], v[238:239], s[18:19], v[216:217] op_sel:[0,0,1] op_sel_hi:[1,0,0] neg_lo:[0,0,1] neg_hi:[0,0,1]
	v_mov_b32_e32 v238, v218
	v_mov_b32_e32 v239, v217
	v_pk_add_f32 v[172:173], v[238:239], v[172:173]
	v_pk_mul_f32 v[238:239], v[244:245], s[38:39] op_sel_hi:[1,0]
	v_pk_add_f32 v[40:41], v[52:53], v[40:41]
	v_pk_fma_f32 v[240:241], v[242:243], s[8:9], v[238:239] op_sel:[0,0,1] op_sel_hi:[1,0,0]
	v_pk_fma_f32 v[238:239], v[242:243], s[8:9], v[238:239] op_sel:[0,0,1] op_sel_hi:[1,0,0] neg_lo:[0,0,1] neg_hi:[0,0,1]
	v_mov_b32_e32 v242, v240
	v_mov_b32_e32 v243, v239
	v_pk_add_f32 v[172:173], v[242:243], v[172:173]
	v_pk_mul_f32 v[242:243], v[248:249], s[16:17] op_sel_hi:[1,0]
	v_mov_b32_e32 v175, v187
	v_pk_fma_f32 v[244:245], v[246:247], s[14:15], v[242:243] op_sel:[0,0,1] op_sel_hi:[1,0,0]
	v_pk_fma_f32 v[242:243], v[246:247], s[14:15], v[242:243] op_sel:[0,0,1] op_sel_hi:[1,0,0] neg_lo:[0,0,1] neg_hi:[0,0,1]
	v_pk_add_f32 v[40:41], v[174:175], v[40:41]
	v_mov_b32_e32 v179, v211
	v_mov_b32_e32 v246, v244
	;; [unrolled: 1-line block ×3, first 2 shown]
	v_pk_add_f32 v[40:41], v[178:179], v[40:41]
	v_mov_b32_e32 v217, v219
	v_pk_add_f32 v[172:173], v[246:247], v[172:173]
	v_pk_mul_f32 v[246:247], v[252:253], s[48:49] op_sel_hi:[1,0]
	v_pk_add_f32 v[40:41], v[216:217], v[40:41]
	v_mov_b32_e32 v239, v241
	v_pk_fma_f32 v[248:249], v[250:251], s[10:11], v[246:247] op_sel:[0,0,1] op_sel_hi:[1,0,0]
	v_pk_fma_f32 v[246:247], v[250:251], s[10:11], v[246:247] op_sel:[0,0,1] op_sel_hi:[1,0,0] neg_lo:[0,0,1] neg_hi:[0,0,1]
	v_pk_add_f32 v[40:41], v[238:239], v[40:41]
	v_mov_b32_e32 v243, v245
	v_mov_b32_e32 v250, v248
	;; [unrolled: 1-line block ×3, first 2 shown]
	v_pk_add_f32 v[40:41], v[242:243], v[40:41]
	v_mov_b32_e32 v247, v249
	v_pk_add_f32 v[172:173], v[250:251], v[172:173]
	v_pk_add_f32 v[40:41], v[246:247], v[40:41]
	;; [unrolled: 1-line block ×3, first 2 shown]
	v_mov_b32_e32 v167, v141
	ds_write2_b64 v169, v[172:173], v[40:41] offset0:8 offset1:9
	v_mov_b32_e32 v103, v101
	v_pk_add_f32 v[40:41], v[136:137], v[182:183]
	v_pk_add_f32 v[24:25], v[24:25], v[36:37]
	;; [unrolled: 1-line block ×3, first 2 shown]
	v_mov_b32_e32 v223, v221
	v_pk_add_f32 v[40:41], v[102:103], v[40:41]
	v_mov_b32_e32 v107, v105
	v_pk_add_f32 v[12:13], v[12:13], v[24:25]
	;; [unrolled: 2-line block ×9, first 2 shown]
	v_mov_b32_e32 v55, v233
	v_accvgpr_read_b32 v113, a77
	v_pk_add_f32 v[12:13], v[80:81], v[12:13]
	v_pk_add_f32 v[14:15], v[54:55], v[14:15]
	v_accvgpr_read_b32 v110, a74
	ds_write2_b64 v169, v[12:13], v[14:15] offset0:12 offset1:13
	v_mov_b32_e32 v13, v110
	v_mov_b32_e32 v12, v110
	v_accvgpr_write_b32 a175, v13
	v_mov_b32_e32 v139, v143
	v_mov_b32_e32 v171, v195
	v_accvgpr_write_b32 a174, v12
	v_mov_b32_e32 v207, v145
	v_pk_add_f32 v[12:13], v[136:137], v[138:139]
	v_pk_add_f32 v[14:15], v[136:137], v[170:171]
	v_mov_b32_e32 v199, v189
	v_pk_add_f32 v[12:13], v[206:207], v[12:13]
	v_mov_b32_e32 v147, v153
	;; [unrolled: 2-line block ×7, first 2 shown]
	v_mov_b32_e32 v63, v65
	v_pk_add_f32 v[12:13], v[148:149], v[12:13]
	v_mov_b32_e32 v151, v165
	v_pk_add_f32 v[0:1], v[0:1], v[10:11]
	v_mov_b32_e32 v5, v205
	v_mov_b32_e32 v69, v73
	v_pk_add_f32 v[52:53], v[136:137], v[62:63]
	v_pk_add_f32 v[12:13], v[150:151], v[12:13]
	v_mov_b32_e32 v161, v193
	v_pk_add_f32 v[0:1], v[4:5], v[0:1]
	v_mov_b32_e32 v9, v209
	;; [unrolled: 2-line block ×6, first 2 shown]
	v_pk_add_f32 v[12:13], v[162:163], v[12:13]
	v_pk_add_f32 v[0:1], v[190:191], v[0:1]
	v_accvgpr_read_b32 v189, a79
	v_pk_add_f32 v[52:53], v[74:75], v[52:53]
	v_mov_b32_e32 v79, v85
	ds_write2_b64 v169, v[12:13], v[0:1] offset0:14 offset1:15
	v_pk_add_f32 v[0:1], v[136:137], v[188:189]
	v_accvgpr_read_b32 v195, a85
	v_pk_add_f32 v[40:41], v[114:115], v[40:41]
	v_mov_b32_e32 v131, v129
	v_pk_add_f32 v[52:53], v[78:79], v[52:53]
	v_mov_b32_e32 v87, v89
	v_pk_add_f32 v[0:1], v[194:195], v[0:1]
	v_accvgpr_read_b32 v201, a93
	v_pk_add_f32 v[40:41], v[130:131], v[40:41]
	v_mov_b32_e32 v135, v133
	v_pk_add_f32 v[52:53], v[86:87], v[52:53]
	v_mov_b32_e32 v91, v93
	;; [unrolled: 6-line block ×3, first 2 shown]
	v_pk_add_f32 v[0:1], v[204:205], v[0:1]
	v_accvgpr_read_b32 v209, a173
	v_pk_add_f32 v[40:41], v[122:123], v[40:41]
	v_pk_add_f32 v[52:53], v[126:127], v[52:53]
	v_pk_add_f32 v[0:1], v[208:209], v[0:1]
	v_accvgpr_read_b32 v3, a177
	ds_write2_b64 v169, v[40:41], v[52:53] offset0:10 offset1:11
	v_accvgpr_read_b32 v107, a63
	v_accvgpr_read_b32 v76, a112
	;; [unrolled: 1-line block ×18, first 2 shown]
	v_accvgpr_mov_b32 a150, a151
	v_pk_add_f32 v[0:1], v[2:3], v[0:1]
	v_accvgpr_read_b32 v7, a179
	v_accvgpr_read_b32 v106, a62
	v_accvgpr_read_b32 v105, a61
	v_accvgpr_read_b32 v104, a60
	v_accvgpr_read_b32 v77, a113
	v_accvgpr_read_b32 v78, a114
	v_accvgpr_read_b32 v79, a115
	v_accvgpr_read_b32 v59, a105
	v_accvgpr_read_b32 v60, a106
	v_accvgpr_read_b32 v61, a107
	v_accvgpr_read_b32 v73, a109
	v_accvgpr_read_b32 v74, a110
	v_accvgpr_read_b32 v75, a111
	v_accvgpr_read_b32 v91, a101
	v_accvgpr_read_b32 v92, a102
	v_accvgpr_read_b32 v93, a103
	v_accvgpr_read_b32 v87, a95
	v_accvgpr_read_b32 v88, a96
	v_accvgpr_read_b32 v89, a97
	v_accvgpr_read_b32 v25, a89
	v_accvgpr_read_b32 v26, a90
	v_accvgpr_read_b32 v27, a91
	v_accvgpr_read_b32 v43, a69
	v_accvgpr_read_b32 v44, a70
	v_accvgpr_read_b32 v45, a71
	v_accvgpr_read_b32 v39, a65
	v_accvgpr_read_b32 v40, a66
	v_accvgpr_read_b32 v41, a67
	v_accvgpr_read_b32 v122, a82
	v_accvgpr_read_b32 v111, a75
	v_accvgpr_read_b32 v130, a126
	v_accvgpr_read_b32 v129, a125
	v_accvgpr_read_b32 v128, a124
	v_accvgpr_read_b32 v126, a122
	v_accvgpr_read_b32 v125, a121
	v_accvgpr_read_b32 v124, a120
	v_accvgpr_read_b32 v236, a144
	v_accvgpr_read_b32 v235, a143
	v_accvgpr_read_b32 v234, a142
	v_accvgpr_read_b32 v184, a140
	v_accvgpr_read_b32 v183, a139
	v_accvgpr_read_b32 v182, a138
	v_accvgpr_read_b32 v140, a136
	v_accvgpr_read_b32 v139, a135
	v_accvgpr_read_b32 v138, a134
	v_accvgpr_read_b32 v134, a132
	v_accvgpr_read_b32 v133, a131
	v_accvgpr_read_b32 v132, a130
	v_accvgpr_read_b32 v162, a152
	v_accvgpr_read_b32 v163, a152
	v_accvgpr_mov_b32 a152, a153
	v_accvgpr_mov_b32 a132, a150
	v_pk_add_f32 v[0:1], v[6:7], v[0:1]
	v_accvgpr_read_b32 v215, a181
	v_mov_b32_e32 v178, v104
	v_mov_b32_e32 v179, v104
	;; [unrolled: 1-line block ×78, first 2 shown]
	v_accvgpr_read_b32 v121, a81
	v_accvgpr_read_b32 v120, a80
	v_mov_b32_e32 v216, v122
	v_mov_b32_e32 v217, v122
	v_mov_b32_e32 v122, v123
	v_accvgpr_read_b32 v112, a76
	v_mov_b32_e32 v110, v111
	v_mov_b32_e32 v186, v128
	;; [unrolled: 1-line block ×13, first 2 shown]
	v_accvgpr_read_b32 v144, a146
	v_accvgpr_read_b32 v145, a146
	v_accvgpr_mov_b32 a146, a147
	v_accvgpr_read_b32 v152, a148
	v_accvgpr_read_b32 v153, a148
	v_accvgpr_mov_b32 a148, a149
	v_mov_b32_e32 v154, v234
	v_mov_b32_e32 v155, v234
	;; [unrolled: 1-line block ×24, first 2 shown]
	v_accvgpr_mov_b32 a133, a151
	v_accvgpr_mov_b32 a134, a152
	;; [unrolled: 1-line block ×3, first 2 shown]
	v_pk_add_f32 v[0:1], v[214:215], v[0:1]
	ds_write_b64 v169, v[0:1] offset:128
	s_and_saveexec_b64 s[56:57], vcc
	s_cbranch_execz .LBB0_13
; %bb.12:
	v_accvgpr_read_b32 v46, a154
	v_pk_add_f32 v[0:1], v[118:119], v[116:117]
	v_accvgpr_read_b32 v47, a155
	v_accvgpr_read_b32 v48, a156
	v_accvgpr_read_b32 v49, a157
	v_pk_add_f32 v[0:1], v[46:47], v[0:1]
	v_accvgpr_read_b32 v50, a158
	v_pk_add_f32 v[0:1], v[48:49], v[0:1]
	v_accvgpr_read_b32 v51, a159
	v_accvgpr_read_b32 v52, a160
	v_accvgpr_read_b32 v53, a161
	v_pk_add_f32 v[0:1], v[50:51], v[0:1]
	;; [unrolled: 6-line block ×5, first 2 shown]
	v_accvgpr_read_b32 v6, a44
	v_accvgpr_read_b32 v2, a73
	v_pk_add_f32 v[0:1], v[12:13], v[0:1]
	v_accvgpr_read_b32 v7, a45
	v_accvgpr_read_b32 v14, a128
	v_lshlrev_b32_e32 v169, 3, v2
	v_accvgpr_read_b32 v8, a46
	v_accvgpr_read_b32 v9, a47
	v_pk_add_f32 v[0:1], v[6:7], v[0:1]
	v_accvgpr_read_b32 v2, a40
	v_accvgpr_read_b32 v15, a129
	v_accvgpr_write_b32 a140, v142
	v_pk_add_f32 v[0:1], v[8:9], v[0:1]
	v_accvgpr_read_b32 v3, a41
	v_accvgpr_read_b32 v4, a42
	;; [unrolled: 1-line block ×3, first 2 shown]
	v_accvgpr_write_b32 a167, v161
	v_accvgpr_write_b32 a141, v143
	v_pk_add_f32 v[142:143], v[118:119], v[14:15] neg_lo:[0,1] neg_hi:[0,1]
	v_accvgpr_write_b32 a163, v159
	v_accvgpr_write_b32 a151, v147
	;; [unrolled: 1-line block ×3, first 2 shown]
	v_pk_add_f32 v[0:1], v[2:3], v[0:1]
	v_accvgpr_write_b32 a166, v160
	v_pk_add_f32 v[160:161], v[14:15], v[118:119]
	v_accvgpr_write_b32 a157, v151
	v_accvgpr_write_b32 a162, v158
	v_pk_add_f32 v[158:159], v[46:47], v[4:5] neg_lo:[0,1] neg_hi:[0,1]
	v_accvgpr_write_b32 a150, v146
	v_pk_add_f32 v[146:147], v[2:3], v[48:49]
	v_accvgpr_write_b32 a154, v148
	v_pk_add_f32 v[148:149], v[48:49], v[2:3] neg_lo:[0,1] neg_hi:[0,1]
	v_accvgpr_write_b32 a120, v138
	v_pk_mul_f32 v[2:3], v[142:143], s[20:21] op_sel_hi:[1,0]
	v_pk_add_f32 v[0:1], v[4:5], v[0:1]
	v_accvgpr_write_b32 a156, v150
	v_pk_add_f32 v[150:151], v[4:5], v[46:47]
	v_accvgpr_write_b32 a51, v45
	v_accvgpr_write_b32 a121, v139
	v_accvgpr_write_b32 a122, v140
	v_accvgpr_write_b32 a123, v141
	v_pk_add_f32 v[140:141], v[6:7], v[52:53]
	v_pk_add_f32 v[52:53], v[52:53], v[6:7] neg_lo:[0,1] neg_hi:[0,1]
	v_pk_fma_f32 v[4:5], v[160:161], s[12:13], v[2:3] op_sel:[0,0,1] op_sel_hi:[1,0,0]
	v_pk_fma_f32 v[2:3], v[160:161], s[12:13], v[2:3] op_sel:[0,0,1] op_sel_hi:[1,0,0] neg_lo:[0,0,1] neg_hi:[0,0,1]
	v_pk_mul_f32 v[6:7], v[158:159], s[36:37] op_sel_hi:[1,0]
	v_accvgpr_write_b32 a50, v44
	v_accvgpr_write_b32 a49, v43
	;; [unrolled: 1-line block ×3, first 2 shown]
	v_pk_add_f32 v[42:43], v[8:9], v[50:51]
	v_pk_add_f32 v[54:55], v[50:51], v[8:9] neg_lo:[0,1] neg_hi:[0,1]
	v_accvgpr_write_b32 a73, v5
	v_mov_b32_e32 v5, v3
	v_pk_fma_f32 v[8:9], v[150:151], s[0:1], v[6:7] op_sel:[0,0,1] op_sel_hi:[1,0,0]
	v_pk_fma_f32 v[6:7], v[150:151], s[0:1], v[6:7] op_sel:[0,0,1] op_sel_hi:[1,0,0] neg_lo:[0,0,1] neg_hi:[0,0,1]
	v_pk_add_f32 v[4:5], v[116:117], v[4:5]
	v_accvgpr_write_b32 a79, v9
	v_mov_b32_e32 v9, v7
	v_accvgpr_write_b32 a164, v206
	v_accvgpr_write_b32 a172, v216
	;; [unrolled: 1-line block ×3, first 2 shown]
	v_pk_add_f32 v[4:5], v[8:9], v[4:5]
	v_pk_mul_f32 v[8:9], v[148:149], s[44:45] op_sel_hi:[1,0]
	v_pk_add_f32 v[138:139], v[12:13], v[80:81]
	v_accvgpr_write_b32 a165, v207
	v_pk_add_f32 v[206:207], v[80:81], v[12:13] neg_lo:[0,1] neg_hi:[0,1]
	v_accvgpr_write_b32 a173, v217
	v_pk_add_f32 v[216:217], v[10:11], v[82:83]
	v_accvgpr_write_b32 a46, v40
	v_accvgpr_write_b32 a45, v39
	;; [unrolled: 1-line block ×3, first 2 shown]
	v_pk_add_f32 v[40:41], v[82:83], v[10:11] neg_lo:[0,1] neg_hi:[0,1]
	v_pk_fma_f32 v[12:13], v[146:147], s[8:9], v[8:9] op_sel:[0,0,1] op_sel_hi:[1,0,0]
	v_pk_fma_f32 v[10:11], v[146:147], s[8:9], v[8:9] op_sel:[0,0,1] op_sel_hi:[1,0,0] neg_lo:[0,0,1] neg_hi:[0,0,1]
	v_mov_b32_e32 v8, v12
	v_mov_b32_e32 v9, v11
	v_pk_add_f32 v[4:5], v[8:9], v[4:5]
	v_pk_mul_f32 v[8:9], v[54:55], s[28:29] op_sel_hi:[1,0]
	v_accvgpr_write_b32 a64, v120
	v_accvgpr_write_b32 a85, v13
	v_pk_fma_f32 v[12:13], v[42:43], s[10:11], v[8:9] op_sel:[0,0,1] op_sel_hi:[1,0,0]
	v_accvgpr_write_b32 a65, v121
	v_accvgpr_write_b32 a66, v122
	v_accvgpr_write_b32 a67, v123
	v_pk_fma_f32 v[120:121], v[42:43], s[10:11], v[8:9] op_sel:[0,0,1] op_sel_hi:[1,0,0] neg_lo:[0,0,1] neg_hi:[0,0,1]
	v_mov_b32_e32 v8, v12
	v_mov_b32_e32 v9, v121
	v_pk_add_f32 v[4:5], v[8:9], v[4:5]
	v_pk_mul_f32 v[8:9], v[52:53], s[16:17] op_sel_hi:[1,0]
	v_accvgpr_write_b32 a104, v124
	v_accvgpr_write_b32 a93, v13
	v_pk_fma_f32 v[12:13], v[140:141], s[14:15], v[8:9] op_sel:[0,0,1] op_sel_hi:[1,0,0]
	v_accvgpr_write_b32 a105, v125
	v_accvgpr_write_b32 a106, v126
	v_accvgpr_write_b32 a107, v127
	v_pk_fma_f32 v[124:125], v[140:141], s[14:15], v[8:9] op_sel:[0,0,1] op_sel_hi:[1,0,0] neg_lo:[0,0,1] neg_hi:[0,0,1]
	v_mov_b32_e32 v8, v12
	v_mov_b32_e32 v9, v125
	v_pk_add_f32 v[4:5], v[8:9], v[4:5]
	v_pk_mul_f32 v[8:9], v[206:207], s[22:23] op_sel_hi:[1,0]
	v_accvgpr_write_b32 a108, v128
	v_accvgpr_write_b32 a177, v13
	v_pk_fma_f32 v[12:13], v[138:139], s[18:19], v[8:9] op_sel:[0,0,1] op_sel_hi:[1,0,0]
	v_accvgpr_write_b32 a109, v129
	v_accvgpr_write_b32 a110, v130
	v_accvgpr_write_b32 a111, v131
	v_pk_fma_f32 v[128:129], v[138:139], s[18:19], v[8:9] op_sel:[0,0,1] op_sel_hi:[1,0,0] neg_lo:[0,0,1] neg_hi:[0,0,1]
	v_mov_b32_e32 v8, v12
	v_mov_b32_e32 v9, v129
	v_pk_add_f32 v[4:5], v[8:9], v[4:5]
	v_pk_mul_f32 v[8:9], v[40:41], s[26:27] op_sel_hi:[1,0]
	v_accvgpr_write_b32 a112, v132
	v_accvgpr_write_b32 a142, v210
	;; [unrolled: 1-line block ×3, first 2 shown]
	v_pk_fma_f32 v[12:13], v[216:217], s[24:25], v[8:9] op_sel:[0,0,1] op_sel_hi:[1,0,0]
	v_accvgpr_write_b32 a113, v133
	v_accvgpr_write_b32 a114, v134
	;; [unrolled: 1-line block ×3, first 2 shown]
	v_pk_fma_f32 v[132:133], v[216:217], s[24:25], v[8:9] op_sel:[0,0,1] op_sel_hi:[1,0,0] neg_lo:[0,0,1] neg_hi:[0,0,1]
	v_accvgpr_write_b32 a143, v211
	v_pk_add_f32 v[210:211], v[94:95], v[96:97] neg_lo:[0,1] neg_hi:[0,1]
	v_mov_b32_e32 v8, v12
	v_mov_b32_e32 v9, v133
	v_pk_add_f32 v[212:213], v[96:97], v[94:95]
	v_pk_add_f32 v[4:5], v[8:9], v[4:5]
	v_pk_mul_f32 v[8:9], v[210:211], s[34:35] op_sel_hi:[1,0]
	v_accvgpr_write_b32 a181, v13
	v_pk_fma_f32 v[12:13], v[212:213], s[30:31], v[8:9] op_sel:[0,0,1] op_sel_hi:[1,0,0]
	v_pk_fma_f32 v[136:137], v[212:213], s[30:31], v[8:9] op_sel:[0,0,1] op_sel_hi:[1,0,0] neg_lo:[0,0,1] neg_hi:[0,0,1]
	v_mov_b32_e32 v8, v12
	v_mov_b32_e32 v9, v137
	v_pk_add_f32 v[0:1], v[14:15], v[0:1]
	v_pk_add_f32 v[4:5], v[8:9], v[4:5]
	ds_write2_b64 v169, v[0:1], v[4:5] offset1:1
	v_pk_mul_f32 v[0:1], v[142:143], s[36:37] op_sel_hi:[1,0]
	v_accvgpr_write_b32 a183, v13
	v_pk_fma_f32 v[4:5], v[160:161], s[0:1], v[0:1] op_sel:[0,0,1] op_sel_hi:[1,0,0]
	v_pk_fma_f32 v[188:189], v[160:161], s[0:1], v[0:1] op_sel:[0,0,1] op_sel_hi:[1,0,0] neg_lo:[0,0,1] neg_hi:[0,0,1]
	v_mov_b32_e32 v0, v4
	v_mov_b32_e32 v3, v5
	v_pk_mul_f32 v[4:5], v[158:159], s[28:29] op_sel_hi:[1,0]
	v_mov_b32_e32 v1, v189
	v_pk_fma_f32 v[8:9], v[150:151], s[10:11], v[4:5] op_sel:[0,0,1] op_sel_hi:[1,0,0]
	v_pk_fma_f32 v[192:193], v[150:151], s[10:11], v[4:5] op_sel:[0,0,1] op_sel_hi:[1,0,0] neg_lo:[0,0,1] neg_hi:[0,0,1]
	v_pk_add_f32 v[0:1], v[116:117], v[0:1]
	v_mov_b32_e32 v4, v8
	v_mov_b32_e32 v5, v193
	v_pk_add_f32 v[0:1], v[4:5], v[0:1]
	v_pk_mul_f32 v[4:5], v[148:149], s[22:23] op_sel_hi:[1,0]
	v_mov_b32_e32 v7, v9
	v_pk_fma_f32 v[8:9], v[146:147], s[18:19], v[4:5] op_sel:[0,0,1] op_sel_hi:[1,0,0]
	v_pk_fma_f32 v[196:197], v[146:147], s[18:19], v[4:5] op_sel:[0,0,1] op_sel_hi:[1,0,0] neg_lo:[0,0,1] neg_hi:[0,0,1]
	v_mov_b32_e32 v4, v8
	v_mov_b32_e32 v5, v197
	v_pk_add_f32 v[0:1], v[4:5], v[0:1]
	v_pk_mul_f32 v[4:5], v[54:55], s[34:35] op_sel_hi:[1,0]
	v_mov_b32_e32 v11, v9
	v_pk_fma_f32 v[8:9], v[42:43], s[30:31], v[4:5] op_sel:[0,0,1] op_sel_hi:[1,0,0]
	v_pk_fma_f32 v[200:201], v[42:43], s[30:31], v[4:5] op_sel:[0,0,1] op_sel_hi:[1,0,0] neg_lo:[0,0,1] neg_hi:[0,0,1]
	;; [unrolled: 7-line block ×6, first 2 shown]
	v_mov_b32_e32 v137, v9
	v_mov_b32_e32 v9, v1
	v_pk_add_f32 v[12:13], v[8:9], v[4:5]
	v_pk_mul_f32 v[4:5], v[142:143], s[44:45] op_sel_hi:[1,0]
	v_accvgpr_write_b32 a71, v27
	v_pk_fma_f32 v[8:9], v[160:161], s[8:9], v[4:5] op_sel:[0,0,1] op_sel_hi:[1,0,0]
	v_pk_fma_f32 v[4:5], v[160:161], s[8:9], v[4:5] op_sel:[0,0,1] op_sel_hi:[1,0,0] neg_lo:[0,0,1] neg_hi:[0,0,1]
	v_mov_b32_e32 v1, v9
	v_mov_b32_e32 v9, v5
	v_pk_add_f32 v[14:15], v[116:117], v[8:9]
	v_pk_mul_f32 v[8:9], v[158:159], s[22:23] op_sel_hi:[1,0]
	v_accvgpr_write_b32 a70, v26
	v_pk_fma_f32 v[36:37], v[150:151], s[18:19], v[8:9] op_sel:[0,0,1] op_sel_hi:[1,0,0]
	v_pk_fma_f32 v[8:9], v[150:151], s[18:19], v[8:9] op_sel:[0,0,1] op_sel_hi:[1,0,0] neg_lo:[0,0,1] neg_hi:[0,0,1]
	v_accvgpr_write_b32 a69, v25
	v_accvgpr_write_b32 a68, v24
	v_mov_b32_e32 v24, v36
	v_mov_b32_e32 v25, v9
	v_pk_add_f32 v[14:15], v[24:25], v[14:15]
	v_pk_mul_f32 v[24:25], v[148:149], s[54:55] op_sel_hi:[1,0]
	v_accvgpr_write_b32 a144, v144
	v_pk_fma_f32 v[26:27], v[146:147], s[30:31], v[24:25] op_sel:[0,0,1] op_sel_hi:[1,0,0]
	v_pk_fma_f32 v[118:119], v[146:147], s[30:31], v[24:25] op_sel:[0,0,1] op_sel_hi:[1,0,0] neg_lo:[0,0,1] neg_hi:[0,0,1]
	v_mov_b32_e32 v24, v26
	v_mov_b32_e32 v25, v119
	v_pk_add_f32 v[14:15], v[24:25], v[14:15]
	v_pk_mul_f32 v[24:25], v[54:55], s[46:47] op_sel_hi:[1,0]
	v_mov_b32_e32 v193, v27
	v_pk_fma_f32 v[26:27], v[42:43], s[14:15], v[24:25] op_sel:[0,0,1] op_sel_hi:[1,0,0]
	v_pk_fma_f32 v[122:123], v[42:43], s[14:15], v[24:25] op_sel:[0,0,1] op_sel_hi:[1,0,0] neg_lo:[0,0,1] neg_hi:[0,0,1]
	v_mov_b32_e32 v24, v26
	v_mov_b32_e32 v25, v123
	v_pk_add_f32 v[14:15], v[24:25], v[14:15]
	v_pk_mul_f32 v[24:25], v[52:53], s[42:43] op_sel_hi:[1,0]
	v_mov_b32_e32 v197, v27
	;; [unrolled: 7-line block ×5, first 2 shown]
	v_pk_fma_f32 v[26:27], v[212:213], s[24:25], v[24:25] op_sel:[0,0,1] op_sel_hi:[1,0,0]
	v_pk_fma_f32 v[170:171], v[212:213], s[24:25], v[24:25] op_sel:[0,0,1] op_sel_hi:[1,0,0] neg_lo:[0,0,1] neg_hi:[0,0,1]
	v_mov_b32_e32 v24, v26
	v_mov_b32_e32 v25, v171
	v_pk_add_f32 v[14:15], v[24:25], v[14:15]
	ds_write2_b64 v169, v[12:13], v[14:15] offset0:2 offset1:3
	v_pk_mul_f32 v[12:13], v[142:143], s[28:29] op_sel_hi:[1,0]
	v_accvgpr_write_b32 a145, v145
	v_pk_fma_f32 v[14:15], v[160:161], s[10:11], v[12:13] op_sel:[0,0,1] op_sel_hi:[1,0,0]
	v_pk_fma_f32 v[190:191], v[160:161], s[10:11], v[12:13] op_sel:[0,0,1] op_sel_hi:[1,0,0] neg_lo:[0,0,1] neg_hi:[0,0,1]
	v_mov_b32_e32 v12, v14
	v_mov_b32_e32 v5, v15
	v_pk_mul_f32 v[14:15], v[158:159], s[34:35] op_sel_hi:[1,0]
	v_mov_b32_e32 v13, v191
	v_pk_fma_f32 v[24:25], v[150:151], s[30:31], v[14:15] op_sel:[0,0,1] op_sel_hi:[1,0,0]
	v_pk_fma_f32 v[194:195], v[150:151], s[30:31], v[14:15] op_sel:[0,0,1] op_sel_hi:[1,0,0] neg_lo:[0,0,1] neg_hi:[0,0,1]
	v_pk_add_f32 v[12:13], v[116:117], v[12:13]
	v_mov_b32_e32 v14, v24
	v_mov_b32_e32 v15, v195
	v_pk_add_f32 v[12:13], v[14:15], v[12:13]
	v_pk_mul_f32 v[14:15], v[148:149], s[46:47] op_sel_hi:[1,0]
	v_mov_b32_e32 v9, v25
	v_pk_fma_f32 v[24:25], v[146:147], s[14:15], v[14:15] op_sel:[0,0,1] op_sel_hi:[1,0,0]
	v_pk_fma_f32 v[198:199], v[146:147], s[14:15], v[14:15] op_sel:[0,0,1] op_sel_hi:[1,0,0] neg_lo:[0,0,1] neg_hi:[0,0,1]
	v_mov_b32_e32 v14, v24
	v_mov_b32_e32 v15, v199
	v_pk_add_f32 v[12:13], v[14:15], v[12:13]
	v_pk_mul_f32 v[14:15], v[54:55], s[40:41] op_sel_hi:[1,0]
	v_mov_b32_e32 v119, v25
	v_pk_fma_f32 v[24:25], v[42:43], s[12:13], v[14:15] op_sel:[0,0,1] op_sel_hi:[1,0,0]
	v_pk_fma_f32 v[82:83], v[42:43], s[12:13], v[14:15] op_sel:[0,0,1] op_sel_hi:[1,0,0] neg_lo:[0,0,1] neg_hi:[0,0,1]
	v_mov_b32_e32 v14, v24
	v_mov_b32_e32 v15, v83
	v_pk_add_f32 v[12:13], v[14:15], v[12:13]
	v_pk_mul_f32 v[14:15], v[52:53], s[44:45] op_sel_hi:[1,0]
	v_mov_b32_e32 v123, v25
	v_pk_fma_f32 v[24:25], v[140:141], s[8:9], v[14:15] op_sel:[0,0,1] op_sel_hi:[1,0,0]
	v_pk_fma_f32 v[80:81], v[140:141], s[8:9], v[14:15] op_sel:[0,0,1] op_sel_hi:[1,0,0] neg_lo:[0,0,1] neg_hi:[0,0,1]
	v_mov_b32_e32 v14, v24
	v_mov_b32_e32 v15, v81
	v_pk_add_f32 v[12:13], v[14:15], v[12:13]
	v_pk_mul_f32 v[14:15], v[206:207], s[26:27] op_sel_hi:[1,0]
	v_mov_b32_e32 v127, v25
	v_pk_fma_f32 v[24:25], v[138:139], s[24:25], v[14:15] op_sel:[0,0,1] op_sel_hi:[1,0,0]
	v_pk_fma_f32 v[202:203], v[138:139], s[24:25], v[14:15] op_sel:[0,0,1] op_sel_hi:[1,0,0] neg_lo:[0,0,1] neg_hi:[0,0,1]
	v_mov_b32_e32 v14, v24
	v_mov_b32_e32 v15, v203
	v_pk_add_f32 v[12:13], v[14:15], v[12:13]
	v_pk_mul_f32 v[14:15], v[40:41], s[52:53] op_sel_hi:[1,0]
	v_mov_b32_e32 v131, v25
	v_pk_fma_f32 v[24:25], v[216:217], s[18:19], v[14:15] op_sel:[0,0,1] op_sel_hi:[1,0,0]
	v_pk_fma_f32 v[144:145], v[216:217], s[18:19], v[14:15] op_sel:[0,0,1] op_sel_hi:[1,0,0] neg_lo:[0,0,1] neg_hi:[0,0,1]
	v_mov_b32_e32 v14, v24
	v_mov_b32_e32 v15, v145
	v_pk_add_f32 v[12:13], v[14:15], v[12:13]
	v_pk_mul_f32 v[14:15], v[210:211], s[42:43] op_sel_hi:[1,0]
	v_mov_b32_e32 v135, v25
	v_pk_fma_f32 v[24:25], v[212:213], s[0:1], v[14:15] op_sel:[0,0,1] op_sel_hi:[1,0,0]
	v_pk_fma_f32 v[50:51], v[212:213], s[0:1], v[14:15] op_sel:[0,0,1] op_sel_hi:[1,0,0] neg_lo:[0,0,1] neg_hi:[0,0,1]
	v_mov_b32_e32 v14, v24
	v_mov_b32_e32 v15, v51
	v_pk_add_f32 v[70:71], v[14:15], v[12:13]
	v_pk_mul_f32 v[12:13], v[142:143], s[16:17] op_sel_hi:[1,0]
	v_mov_b32_e32 v171, v25
	v_pk_fma_f32 v[24:25], v[160:161], s[14:15], v[12:13] op_sel:[0,0,1] op_sel_hi:[1,0,0]
	v_pk_fma_f32 v[14:15], v[160:161], s[14:15], v[12:13] op_sel:[0,0,1] op_sel_hi:[1,0,0] neg_lo:[0,0,1] neg_hi:[0,0,1]
	v_mov_b32_e32 v12, v24
	v_mov_b32_e32 v51, v25
	v_pk_mul_f32 v[24:25], v[158:159], s[50:51] op_sel_hi:[1,0]
	v_mov_b32_e32 v189, v37
	v_mov_b32_e32 v215, v27
	;; [unrolled: 1-line block ×3, first 2 shown]
	v_pk_fma_f32 v[36:37], v[150:151], s[24:25], v[24:25] op_sel:[0,0,1] op_sel_hi:[1,0,0]
	v_pk_fma_f32 v[26:27], v[150:151], s[24:25], v[24:25] op_sel:[0,0,1] op_sel_hi:[1,0,0] neg_lo:[0,0,1] neg_hi:[0,0,1]
	v_pk_add_f32 v[12:13], v[116:117], v[12:13]
	v_mov_b32_e32 v24, v36
	v_mov_b32_e32 v25, v27
	v_pk_add_f32 v[12:13], v[24:25], v[12:13]
	v_pk_mul_f32 v[24:25], v[148:149], s[42:43] op_sel_hi:[1,0]
	v_mov_b32_e32 v81, v37
	v_pk_fma_f32 v[36:37], v[146:147], s[0:1], v[24:25] op_sel:[0,0,1] op_sel_hi:[1,0,0]
	v_pk_fma_f32 v[38:39], v[146:147], s[0:1], v[24:25] op_sel:[0,0,1] op_sel_hi:[1,0,0] neg_lo:[0,0,1] neg_hi:[0,0,1]
	v_mov_b32_e32 v24, v36
	v_mov_b32_e32 v25, v39
	v_pk_add_f32 v[12:13], v[24:25], v[12:13]
	v_pk_mul_f32 v[24:25], v[54:55], s[44:45] op_sel_hi:[1,0]
	v_mov_b32_e32 v83, v37
	v_pk_fma_f32 v[36:37], v[42:43], s[8:9], v[24:25] op_sel:[0,0,1] op_sel_hi:[1,0,0]
	v_pk_fma_f32 v[46:47], v[42:43], s[8:9], v[24:25] op_sel:[0,0,1] op_sel_hi:[1,0,0] neg_lo:[0,0,1] neg_hi:[0,0,1]
	v_mov_b32_e32 v24, v36
	v_mov_b32_e32 v25, v47
	v_pk_add_f32 v[12:13], v[24:25], v[12:13]
	v_pk_mul_f32 v[24:25], v[52:53], s[34:35] op_sel_hi:[1,0]
	v_accvgpr_write_b32 a91, v61
	v_mov_b32_e32 v145, v37
	v_pk_fma_f32 v[36:37], v[140:141], s[30:31], v[24:25] op_sel:[0,0,1] op_sel_hi:[1,0,0]
	v_accvgpr_write_b32 a90, v60
	v_accvgpr_write_b32 a89, v59
	;; [unrolled: 1-line block ×3, first 2 shown]
	v_pk_fma_f32 v[58:59], v[140:141], s[30:31], v[24:25] op_sel:[0,0,1] op_sel_hi:[1,0,0] neg_lo:[0,0,1] neg_hi:[0,0,1]
	v_mov_b32_e32 v24, v36
	v_mov_b32_e32 v25, v59
	v_pk_add_f32 v[12:13], v[24:25], v[12:13]
	v_pk_mul_f32 v[24:25], v[206:207], s[48:49] op_sel_hi:[1,0]
	v_mov_b32_e32 v191, v37
	v_pk_fma_f32 v[36:37], v[138:139], s[10:11], v[24:25] op_sel:[0,0,1] op_sel_hi:[1,0,0]
	v_pk_fma_f32 v[62:63], v[138:139], s[10:11], v[24:25] op_sel:[0,0,1] op_sel_hi:[1,0,0] neg_lo:[0,0,1] neg_hi:[0,0,1]
	v_mov_b32_e32 v24, v36
	v_mov_b32_e32 v25, v63
	v_pk_add_f32 v[24:25], v[24:25], v[12:13]
	v_pk_mul_f32 v[12:13], v[40:41], s[20:21] op_sel_hi:[1,0]
	v_mov_b32_e32 v195, v37
	v_pk_fma_f32 v[36:37], v[216:217], s[12:13], v[12:13] op_sel:[0,0,1] op_sel_hi:[1,0,0]
	v_pk_fma_f32 v[12:13], v[216:217], s[12:13], v[12:13] op_sel:[0,0,1] op_sel_hi:[1,0,0] neg_lo:[0,0,1] neg_hi:[0,0,1]
	v_mov_b32_e32 v199, v37
	v_mov_b32_e32 v37, v13
	v_accvgpr_write_b32 a97, v75
	v_accvgpr_write_b32 a96, v74
	;; [unrolled: 1-line block ×4, first 2 shown]
	v_pk_add_f32 v[72:73], v[36:37], v[24:25]
	v_pk_mul_f32 v[24:25], v[210:211], s[22:23] op_sel_hi:[1,0]
	v_accvgpr_write_b32 a103, v79
	v_pk_fma_f32 v[56:57], v[212:213], s[18:19], v[24:25] op_sel:[0,0,1] op_sel_hi:[1,0,0]
	v_pk_fma_f32 v[24:25], v[212:213], s[18:19], v[24:25] op_sel:[0,0,1] op_sel_hi:[1,0,0] neg_lo:[0,0,1] neg_hi:[0,0,1]
	v_mov_b32_e32 v74, v56
	v_mov_b32_e32 v75, v25
	v_pk_add_f32 v[72:73], v[74:75], v[72:73]
	ds_write2_b64 v169, v[70:71], v[72:73] offset0:4 offset1:5
	v_pk_mul_f32 v[70:71], v[142:143], s[22:23] op_sel_hi:[1,0]
	v_accvgpr_write_b32 a102, v78
	v_pk_fma_f32 v[72:73], v[160:161], s[18:19], v[70:71] op_sel:[0,0,1] op_sel_hi:[1,0,0]
	v_pk_fma_f32 v[70:71], v[160:161], s[18:19], v[70:71] op_sel:[0,0,1] op_sel_hi:[1,0,0] neg_lo:[0,0,1] neg_hi:[0,0,1]
	v_accvgpr_write_b32 a101, v77
	v_accvgpr_write_b32 a100, v76
	v_pk_mul_f32 v[76:77], v[158:159], s[46:47] op_sel_hi:[1,0]
	v_mov_b32_e32 v74, v72
	v_mov_b32_e32 v75, v71
	v_pk_fma_f32 v[48:49], v[150:151], s[14:15], v[76:77] op_sel:[0,0,1] op_sel_hi:[1,0,0]
	v_pk_fma_f32 v[76:77], v[150:151], s[14:15], v[76:77] op_sel:[0,0,1] op_sel_hi:[1,0,0] neg_lo:[0,0,1] neg_hi:[0,0,1]
	v_pk_add_f32 v[74:75], v[116:117], v[74:75]
	v_mov_b32_e32 v84, v48
	v_mov_b32_e32 v85, v77
	v_pk_add_f32 v[74:75], v[84:85], v[74:75]
	v_pk_mul_f32 v[84:85], v[148:149], s[20:21] op_sel_hi:[1,0]
	v_accvgpr_write_b32 a74, v86
	v_pk_fma_f32 v[44:45], v[146:147], s[12:13], v[84:85] op_sel:[0,0,1] op_sel_hi:[1,0,0]
	v_pk_fma_f32 v[84:85], v[146:147], s[12:13], v[84:85] op_sel:[0,0,1] op_sel_hi:[1,0,0] neg_lo:[0,0,1] neg_hi:[0,0,1]
	v_accvgpr_write_b32 a75, v87
	v_accvgpr_write_b32 a76, v88
	v_accvgpr_write_b32 a77, v89
	v_mov_b32_e32 v88, v44
	v_mov_b32_e32 v89, v85
	v_pk_add_f32 v[74:75], v[88:89], v[74:75]
	v_pk_mul_f32 v[88:89], v[54:55], s[26:27] op_sel_hi:[1,0]
	v_accvgpr_write_b32 a80, v90
	v_pk_fma_f32 v[36:37], v[42:43], s[24:25], v[88:89] op_sel:[0,0,1] op_sel_hi:[1,0,0]
	v_pk_fma_f32 v[88:89], v[42:43], s[24:25], v[88:89] op_sel:[0,0,1] op_sel_hi:[1,0,0] neg_lo:[0,0,1] neg_hi:[0,0,1]
	v_accvgpr_write_b32 a81, v91
	v_accvgpr_write_b32 a82, v92
	;; [unrolled: 1-line block ×3, first 2 shown]
	v_mov_b32_e32 v92, v36
	v_mov_b32_e32 v93, v89
	v_pk_add_f32 v[74:75], v[92:93], v[74:75]
	v_pk_mul_f32 v[92:93], v[52:53], s[48:49] op_sel_hi:[1,0]
	v_accvgpr_write_b32 a40, v104
	v_pk_fma_f32 v[94:95], v[140:141], s[10:11], v[92:93] op_sel:[0,0,1] op_sel_hi:[1,0,0]
	v_pk_fma_f32 v[92:93], v[140:141], s[10:11], v[92:93] op_sel:[0,0,1] op_sel_hi:[1,0,0] neg_lo:[0,0,1] neg_hi:[0,0,1]
	v_mov_b32_e32 v96, v94
	v_mov_b32_e32 v97, v93
	v_pk_add_f32 v[74:75], v[96:97], v[74:75]
	v_pk_mul_f32 v[96:97], v[206:207], s[36:37] op_sel_hi:[1,0]
	v_accvgpr_write_b32 a41, v105
	v_pk_fma_f32 v[98:99], v[138:139], s[0:1], v[96:97] op_sel:[0,0,1] op_sel_hi:[1,0,0]
	v_pk_fma_f32 v[96:97], v[138:139], s[0:1], v[96:97] op_sel:[0,0,1] op_sel_hi:[1,0,0] neg_lo:[0,0,1] neg_hi:[0,0,1]
	;; [unrolled: 7-line block ×3, first 2 shown]
	v_accvgpr_write_b32 a43, v107
	v_mov_b32_e32 v104, v102
	v_mov_b32_e32 v105, v101
	v_pk_add_f32 v[74:75], v[104:105], v[74:75]
	v_pk_mul_f32 v[104:105], v[210:211], s[38:39] op_sel_hi:[1,0]
	v_accvgpr_write_b32 a60, v110
	v_pk_fma_f32 v[106:107], v[212:213], s[8:9], v[104:105] op_sel:[0,0,1] op_sel_hi:[1,0,0]
	v_pk_fma_f32 v[104:105], v[212:213], s[8:9], v[104:105] op_sel:[0,0,1] op_sel_hi:[1,0,0] neg_lo:[0,0,1] neg_hi:[0,0,1]
	v_mov_b32_e32 v108, v106
	v_mov_b32_e32 v109, v105
	v_pk_add_f32 v[74:75], v[108:109], v[74:75]
	v_pk_mul_f32 v[108:109], v[142:143], s[26:27] op_sel_hi:[1,0]
	v_accvgpr_write_b32 a137, v115
	v_accvgpr_write_b32 a61, v111
	;; [unrolled: 1-line block ×4, first 2 shown]
	v_pk_fma_f32 v[110:111], v[160:161], s[24:25], v[108:109] op_sel:[0,0,1] op_sel_hi:[1,0,0]
	v_pk_fma_f32 v[108:109], v[160:161], s[24:25], v[108:109] op_sel:[0,0,1] op_sel_hi:[1,0,0] neg_lo:[0,0,1] neg_hi:[0,0,1]
	v_accvgpr_write_b32 a136, v114
	v_pk_mul_f32 v[114:115], v[158:159], s[38:39] op_sel_hi:[1,0]
	v_accvgpr_write_b32 a124, v182
	v_mov_b32_e32 v112, v110
	v_mov_b32_e32 v113, v109
	v_accvgpr_write_b32 a125, v183
	v_accvgpr_write_b32 a126, v184
	;; [unrolled: 1-line block ×3, first 2 shown]
	v_pk_fma_f32 v[182:183], v[150:151], s[8:9], v[114:115] op_sel:[0,0,1] op_sel_hi:[1,0,0]
	v_pk_fma_f32 v[114:115], v[150:151], s[8:9], v[114:115] op_sel:[0,0,1] op_sel_hi:[1,0,0] neg_lo:[0,0,1] neg_hi:[0,0,1]
	v_pk_add_f32 v[112:113], v[116:117], v[112:113]
	v_mov_b32_e32 v184, v182
	v_mov_b32_e32 v185, v115
	v_pk_add_f32 v[112:113], v[184:185], v[112:113]
	v_pk_mul_f32 v[184:185], v[148:149], s[28:29] op_sel_hi:[1,0]
	v_accvgpr_write_b32 a152, v152
	v_accvgpr_write_b32 a153, v153
	v_pk_fma_f32 v[152:153], v[146:147], s[10:11], v[184:185] op_sel:[0,0,1] op_sel_hi:[1,0,0]
	v_pk_fma_f32 v[184:185], v[146:147], s[10:11], v[184:185] op_sel:[0,0,1] op_sel_hi:[1,0,0] neg_lo:[0,0,1] neg_hi:[0,0,1]
	v_accvgpr_write_b32 a138, v186
	v_accvgpr_write_b32 a139, v187
	v_mov_b32_e32 v186, v152
	v_mov_b32_e32 v187, v185
	v_pk_add_f32 v[112:113], v[186:187], v[112:113]
	v_pk_mul_f32 v[186:187], v[54:55], s[52:53] op_sel_hi:[1,0]
	v_accvgpr_write_b32 a159, v155
	v_accvgpr_write_b32 a158, v154
	v_pk_fma_f32 v[154:155], v[42:43], s[18:19], v[186:187] op_sel:[0,0,1] op_sel_hi:[1,0,0]
	v_pk_fma_f32 v[186:187], v[42:43], s[18:19], v[186:187] op_sel:[0,0,1] op_sel_hi:[1,0,0] neg_lo:[0,0,1] neg_hi:[0,0,1]
	v_mov_b32_e32 v60, v154
	v_mov_b32_e32 v61, v187
	v_pk_add_f32 v[60:61], v[60:61], v[112:113]
	v_pk_mul_f32 v[112:113], v[52:53], s[20:21] op_sel_hi:[1,0]
	v_accvgpr_write_b32 a169, v163
	v_accvgpr_write_b32 a168, v162
	v_pk_fma_f32 v[162:163], v[140:141], s[12:13], v[112:113] op_sel:[0,0,1] op_sel_hi:[1,0,0]
	v_pk_fma_f32 v[112:113], v[140:141], s[12:13], v[112:113] op_sel:[0,0,1] op_sel_hi:[1,0,0] neg_lo:[0,0,1] neg_hi:[0,0,1]
	v_accvgpr_write_b32 a161, v157
	v_accvgpr_write_b32 a160, v156
	v_mov_b32_e32 v156, v162
	v_mov_b32_e32 v157, v113
	v_pk_add_f32 v[60:61], v[156:157], v[60:61]
	v_pk_mul_f32 v[156:157], v[206:207], s[34:35] op_sel_hi:[1,0]
	v_accvgpr_write_b32 a128, v234
	v_accvgpr_write_b32 a129, v235
	;; [unrolled: 1-line block ×4, first 2 shown]
	v_pk_fma_f32 v[234:235], v[138:139], s[30:31], v[156:157] op_sel:[0,0,1] op_sel_hi:[1,0,0]
	v_pk_fma_f32 v[156:157], v[138:139], s[30:31], v[156:157] op_sel:[0,0,1] op_sel_hi:[1,0,0] neg_lo:[0,0,1] neg_hi:[0,0,1]
	v_accvgpr_write_b32 a171, v165
	v_accvgpr_write_b32 a170, v164
	v_mov_b32_e32 v164, v234
	v_mov_b32_e32 v165, v157
	v_pk_add_f32 v[60:61], v[164:165], v[60:61]
	v_pk_mul_f32 v[164:165], v[40:41], s[42:43] op_sel_hi:[1,0]
	v_pk_mul_f32 v[148:149], v[148:149], s[26:27] op_sel_hi:[1,0]
	v_pk_fma_f32 v[86:87], v[216:217], s[0:1], v[164:165] op_sel:[0,0,1] op_sel_hi:[1,0,0]
	v_pk_fma_f32 v[164:165], v[216:217], s[0:1], v[164:165] op_sel:[0,0,1] op_sel_hi:[1,0,0] neg_lo:[0,0,1] neg_hi:[0,0,1]
	v_mov_b32_e32 v78, v86
	v_mov_b32_e32 v79, v165
	v_pk_add_f32 v[60:61], v[78:79], v[60:61]
	v_pk_mul_f32 v[78:79], v[210:211], s[16:17] op_sel_hi:[1,0]
	v_pk_mul_f32 v[54:55], v[54:55], s[42:43] op_sel_hi:[1,0]
	v_pk_fma_f32 v[90:91], v[212:213], s[14:15], v[78:79] op_sel:[0,0,1] op_sel_hi:[1,0,0]
	v_pk_fma_f32 v[78:79], v[212:213], s[14:15], v[78:79] op_sel:[0,0,1] op_sel_hi:[1,0,0] neg_lo:[0,0,1] neg_hi:[0,0,1]
	v_mov_b32_e32 v236, v90
	v_mov_b32_e32 v237, v79
	v_pk_add_f32 v[60:61], v[236:237], v[60:61]
	ds_write2_b64 v169, v[74:75], v[60:61] offset0:6 offset1:7
	v_pk_mul_f32 v[60:61], v[142:143], s[34:35] op_sel_hi:[1,0]
	v_pk_mul_f32 v[142:143], v[158:159], s[40:41] op_sel_hi:[1,0]
	v_pk_fma_f32 v[74:75], v[160:161], s[30:31], v[60:61] op_sel:[0,0,1] op_sel_hi:[1,0,0]
	v_pk_fma_f32 v[60:61], v[160:161], s[30:31], v[60:61] op_sel:[0,0,1] op_sel_hi:[1,0,0] neg_lo:[0,0,1] neg_hi:[0,0,1]
	v_pk_fma_f32 v[158:159], v[150:151], s[12:13], v[142:143] op_sel:[0,0,1] op_sel_hi:[1,0,0]
	v_pk_fma_f32 v[142:143], v[150:151], s[12:13], v[142:143] op_sel:[0,0,1] op_sel_hi:[1,0,0] neg_lo:[0,0,1] neg_hi:[0,0,1]
	v_mov_b32_e32 v150, v74
	v_mov_b32_e32 v151, v61
	v_pk_add_f32 v[150:151], v[116:117], v[150:151]
	v_mov_b32_e32 v160, v158
	v_mov_b32_e32 v161, v143
	v_pk_add_f32 v[150:151], v[160:161], v[150:151]
	v_pk_fma_f32 v[160:161], v[146:147], s[24:25], v[148:149] op_sel:[0,0,1] op_sel_hi:[1,0,0]
	v_pk_fma_f32 v[146:147], v[146:147], s[24:25], v[148:149] op_sel:[0,0,1] op_sel_hi:[1,0,0] neg_lo:[0,0,1] neg_hi:[0,0,1]
	v_mov_b32_e32 v148, v160
	v_mov_b32_e32 v149, v147
	v_pk_add_f32 v[148:149], v[148:149], v[150:151]
	v_pk_fma_f32 v[150:151], v[42:43], s[0:1], v[54:55] op_sel:[0,0,1] op_sel_hi:[1,0,0]
	v_pk_fma_f32 v[42:43], v[42:43], s[0:1], v[54:55] op_sel:[0,0,1] op_sel_hi:[1,0,0] neg_lo:[0,0,1] neg_hi:[0,0,1]
	v_mov_b32_e32 v54, v150
	v_mov_b32_e32 v55, v43
	v_pk_mul_f32 v[52:53], v[52:53], s[22:23] op_sel_hi:[1,0]
	v_pk_add_f32 v[54:55], v[54:55], v[148:149]
	v_pk_fma_f32 v[148:149], v[140:141], s[18:19], v[52:53] op_sel:[0,0,1] op_sel_hi:[1,0,0]
	v_pk_fma_f32 v[52:53], v[140:141], s[18:19], v[52:53] op_sel:[0,0,1] op_sel_hi:[1,0,0] neg_lo:[0,0,1] neg_hi:[0,0,1]
	v_mov_b32_e32 v140, v148
	v_mov_b32_e32 v141, v53
	v_mov_b32_e32 v61, v75
	v_pk_add_f32 v[54:55], v[140:141], v[54:55]
	v_pk_mul_f32 v[140:141], v[206:207], s[38:39] op_sel_hi:[1,0]
	v_mov_b32_e32 v143, v159
	v_pk_add_f32 v[60:61], v[116:117], v[60:61]
	v_mov_b32_e32 v59, v191
	v_mov_b32_e32 v191, v5
	v_mov_b32_e32 v5, v1
	v_pk_fma_f32 v[206:207], v[138:139], s[8:9], v[140:141] op_sel:[0,0,1] op_sel_hi:[1,0,0]
	v_pk_fma_f32 v[138:139], v[138:139], s[8:9], v[140:141] op_sel:[0,0,1] op_sel_hi:[1,0,0] neg_lo:[0,0,1] neg_hi:[0,0,1]
	v_pk_add_f32 v[60:61], v[142:143], v[60:61]
	v_mov_b32_e32 v147, v161
	v_mov_b32_e32 v63, v195
	v_mov_b32_e32 v195, v9
	v_pk_add_f32 v[4:5], v[116:117], v[4:5]
	v_mov_b32_e32 v9, v189
	v_mov_b32_e32 v189, v3
	;; [unrolled: 1-line block ×4, first 2 shown]
	v_pk_mul_f32 v[40:41], v[40:41], s[16:17] op_sel_hi:[1,0]
	v_pk_add_f32 v[60:61], v[146:147], v[60:61]
	v_mov_b32_e32 v43, v151
	v_mov_b32_e32 v13, v199
	;; [unrolled: 1-line block ×3, first 2 shown]
	v_pk_add_f32 v[4:5], v[8:9], v[4:5]
	v_mov_b32_e32 v119, v193
	v_pk_add_f32 v[8:9], v[116:117], v[188:189]
	v_mov_b32_e32 v193, v7
	v_pk_add_f32 v[54:55], v[140:141], v[54:55]
	v_pk_fma_f32 v[140:141], v[216:217], s[14:15], v[40:41] op_sel:[0,0,1] op_sel_hi:[1,0,0]
	v_pk_fma_f32 v[40:41], v[216:217], s[14:15], v[40:41] op_sel:[0,0,1] op_sel_hi:[1,0,0] neg_lo:[0,0,1] neg_hi:[0,0,1]
	v_pk_add_f32 v[42:43], v[42:43], v[60:61]
	v_mov_b32_e32 v53, v149
	v_mov_b32_e32 v15, v51
	;; [unrolled: 1-line block ×5, first 2 shown]
	v_pk_add_f32 v[8:9], v[192:193], v[8:9]
	v_mov_b32_e32 v197, v11
	v_mov_b32_e32 v216, v140
	;; [unrolled: 1-line block ×3, first 2 shown]
	v_pk_mul_f32 v[210:211], v[210:211], s[48:49] op_sel_hi:[1,0]
	v_pk_add_f32 v[42:43], v[52:53], v[42:43]
	v_mov_b32_e32 v139, v207
	v_pk_add_f32 v[14:15], v[116:117], v[14:15]
	v_mov_b32_e32 v27, v81
	v_mov_b32_e32 v81, v127
	v_pk_add_f32 v[4:5], v[118:119], v[4:5]
	v_mov_b32_e32 v127, v201
	v_pk_add_f32 v[8:9], v[196:197], v[8:9]
	;; [unrolled: 2-line block ×3, first 2 shown]
	v_pk_fma_f32 v[216:217], v[212:213], s[10:11], v[210:211] op_sel:[0,0,1] op_sel_hi:[1,0,0]
	v_pk_fma_f32 v[210:211], v[212:213], s[10:11], v[210:211] op_sel:[0,0,1] op_sel_hi:[1,0,0] neg_lo:[0,0,1] neg_hi:[0,0,1]
	v_pk_add_f32 v[42:43], v[138:139], v[42:43]
	v_mov_b32_e32 v41, v141
	v_pk_add_f32 v[14:15], v[26:27], v[14:15]
	v_mov_b32_e32 v203, v131
	;; [unrolled: 2-line block ×4, first 2 shown]
	v_mov_b32_e32 v212, v216
	v_mov_b32_e32 v213, v211
	v_pk_add_f32 v[40:41], v[40:41], v[42:43]
	v_mov_b32_e32 v211, v217
	v_pk_add_f32 v[14:15], v[38:39], v[14:15]
	v_mov_b32_e32 v47, v145
	v_mov_b32_e32 v145, v135
	v_pk_add_f32 v[4:5], v[126:127], v[4:5]
	v_mov_b32_e32 v135, v209
	v_pk_add_f32 v[8:9], v[204:205], v[8:9]
	v_mov_b32_e32 v209, v129
	v_pk_add_f32 v[54:55], v[212:213], v[54:55]
	v_pk_add_f32 v[40:41], v[210:211], v[40:41]
	v_mov_b32_e32 v109, v111
	v_mov_b32_e32 v71, v73
	v_pk_add_f32 v[14:15], v[46:47], v[14:15]
	v_mov_b32_e32 v51, v171
	v_pk_add_f32 v[4:5], v[130:131], v[4:5]
	;; [unrolled: 2-line block ×3, first 2 shown]
	v_mov_b32_e32 v215, v133
	ds_write2_b64 v169, v[54:55], v[40:41] offset0:8 offset1:9
	v_pk_add_f32 v[40:41], v[116:117], v[108:109]
	v_mov_b32_e32 v115, v183
	v_pk_add_f32 v[42:43], v[116:117], v[70:71]
	v_mov_b32_e32 v77, v49
	v_pk_add_f32 v[14:15], v[58:59], v[14:15]
	v_pk_add_f32 v[4:5], v[134:135], v[4:5]
	;; [unrolled: 1-line block ×3, first 2 shown]
	v_mov_b32_e32 v1, v137
	v_pk_add_f32 v[40:41], v[114:115], v[40:41]
	v_mov_b32_e32 v185, v153
	v_pk_add_f32 v[42:43], v[76:77], v[42:43]
	;; [unrolled: 2-line block ×3, first 2 shown]
	v_pk_add_f32 v[4:5], v[170:171], v[4:5]
	v_pk_add_f32 v[0:1], v[0:1], v[8:9]
	v_accvgpr_read_b32 v3, a73
	v_pk_add_f32 v[40:41], v[184:185], v[40:41]
	v_mov_b32_e32 v187, v155
	v_pk_add_f32 v[42:43], v[84:85], v[42:43]
	v_mov_b32_e32 v89, v37
	v_pk_add_f32 v[12:13], v[12:13], v[14:15]
	v_pk_add_f32 v[14:15], v[116:117], v[190:191]
	ds_write2_b64 v169, v[4:5], v[0:1] offset0:14 offset1:15
	v_pk_add_f32 v[0:1], v[116:117], v[2:3]
	v_accvgpr_read_b32 v7, a79
	v_pk_add_f32 v[40:41], v[186:187], v[40:41]
	v_mov_b32_e32 v113, v163
	v_pk_add_f32 v[36:37], v[88:89], v[42:43]
	v_mov_b32_e32 v93, v95
	v_pk_add_f32 v[14:15], v[194:195], v[14:15]
	v_pk_add_f32 v[0:1], v[6:7], v[0:1]
	v_accvgpr_read_b32 v11, a85
	v_pk_add_f32 v[40:41], v[112:113], v[40:41]
	v_mov_b32_e32 v157, v235
	v_pk_add_f32 v[36:37], v[92:93], v[36:37]
	v_mov_b32_e32 v97, v99
	v_pk_add_f32 v[14:15], v[198:199], v[14:15]
	;; [unrolled: 7-line block ×4, first 2 shown]
	v_pk_add_f32 v[0:1], v[124:125], v[0:1]
	v_accvgpr_read_b32 v129, a179
	v_pk_add_f32 v[40:41], v[78:79], v[40:41]
	v_pk_add_f32 v[36:37], v[104:105], v[36:37]
	v_mov_b32_e32 v25, v57
	v_pk_add_f32 v[14:15], v[202:203], v[14:15]
	v_pk_add_f32 v[0:1], v[128:129], v[0:1]
	v_accvgpr_read_b32 v133, a181
	v_accvgpr_read_b32 v158, a162
	;; [unrolled: 1-line block ×27, first 2 shown]
	ds_write2_b64 v169, v[40:41], v[36:37] offset0:10 offset1:11
	v_accvgpr_read_b32 v38, a44
	v_accvgpr_read_b32 v58, a88
	v_pk_add_f32 v[12:13], v[24:25], v[12:13]
	v_accvgpr_read_b32 v24, a68
	v_pk_add_f32 v[14:15], v[144:145], v[14:15]
	v_accvgpr_read_b32 v144, a144
	v_accvgpr_read_b32 v123, a67
	;; [unrolled: 1-line block ×4, first 2 shown]
	v_pk_add_f32 v[0:1], v[132:133], v[0:1]
	v_accvgpr_read_b32 v135, a115
	v_accvgpr_read_b32 v137, a183
	;; [unrolled: 1-line block ×58, first 2 shown]
	v_pk_add_f32 v[14:15], v[50:51], v[14:15]
	v_accvgpr_read_b32 v122, a66
	v_accvgpr_read_b32 v121, a65
	;; [unrolled: 1-line block ×12, first 2 shown]
	v_pk_add_f32 v[0:1], v[136:137], v[0:1]
	ds_write2_b64 v169, v[12:13], v[14:15] offset0:12 offset1:13
	ds_write_b64 v169, v[0:1] offset:128
.LBB0_13:
	s_or_b64 exec, exec, s[56:57]
	v_add_u32_e32 v11, 0x1800, v168
	s_waitcnt lgkmcnt(0)
	; wave barrier
	s_waitcnt lgkmcnt(0)
	ds_read2_b64 v[4:7], v11 offset0:48 offset1:99
	v_add_u32_e32 v10, 0x2000, v168
	s_mov_b32 s0, 0x3f5db3d7
	s_mov_b32 s16, 0x3f248dbb
	s_mov_b32 s17, 0x3f7c1c5c
	s_waitcnt lgkmcnt(0)
	v_pk_mul_f32 v[2:3], v[104:105], v[6:7]
	s_mov_b32 s18, s17
	v_pk_fma_f32 v[0:1], v[178:179], v[6:7], v[2:3] op_sel:[0,0,1] op_sel_hi:[1,1,0]
	v_pk_fma_f32 v[48:49], v[178:179], v[6:7], v[2:3] op_sel:[0,0,1] op_sel_hi:[1,1,0] neg_lo:[0,0,1] neg_hi:[0,0,1]
	v_pk_mul_f32 v[6:7], v[76:77], v[4:5]
	v_accvgpr_read_b32 v1, a59
	v_pk_fma_f32 v[2:3], v[254:255], v[4:5], v[6:7] op_sel:[0,0,1] op_sel_hi:[1,1,0]
	v_pk_fma_f32 v[50:51], v[254:255], v[4:5], v[6:7] op_sel:[0,0,1] op_sel_hi:[1,1,0] neg_lo:[0,0,1] neg_hi:[0,0,1]
	ds_read2_b64 v[6:9], v10 offset0:200 offset1:251
	v_mov_b32_e32 v3, v51
	s_mov_b32 s19, s16
	s_mov_b32 s10, 0x3f441b7d
	;; [unrolled: 1-line block ×3, first 2 shown]
	s_waitcnt lgkmcnt(0)
	v_pk_mul_f32 v[12:13], v[78:79], v[8:9]
	s_mov_b32 s12, 0x3f708fb2
	v_pk_fma_f32 v[4:5], v[252:253], v[8:9], v[12:13] op_sel:[0,0,1] op_sel_hi:[1,1,0]
	v_pk_fma_f32 v[52:53], v[252:253], v[8:9], v[12:13] op_sel:[0,0,1] op_sel_hi:[1,1,0] neg_lo:[0,0,1] neg_hi:[0,0,1]
	v_pk_mul_f32 v[8:9], v[60:61], v[6:7]
	v_add_u32_e32 v13, 0x1000, v168
	v_pk_fma_f32 v[54:55], v[218:219], v[6:7], v[8:9] op_sel:[0,0,1] op_sel_hi:[1,1,0]
	v_pk_fma_f32 v[56:57], v[218:219], v[6:7], v[8:9] op_sel:[0,0,1] op_sel_hi:[1,1,0] neg_lo:[0,0,1] neg_hi:[0,0,1]
	ds_read2_b64 v[6:9], v13 offset0:202 offset1:253
	v_add_u32_e32 v12, 0x1c00, v168
	v_mov_b32_e32 v5, v53
	v_pk_add_f32 v[50:51], v[2:3], v[4:5] neg_lo:[0,1] neg_hi:[0,1]
	v_mov_b32_e32 v55, v57
	s_waitcnt lgkmcnt(0)
	v_pk_mul_f32 v[14:15], v[58:59], v[8:9]
	v_pk_mul_f32 v[50:51], v[50:51], s[0:1] op_sel_hi:[1,0]
	v_pk_fma_f32 v[58:59], v[240:241], v[8:9], v[14:15] op_sel:[0,0,1] op_sel_hi:[1,1,0]
	v_pk_fma_f32 v[60:61], v[240:241], v[8:9], v[14:15] op_sel:[0,0,1] op_sel_hi:[1,1,0] neg_lo:[0,0,1] neg_hi:[0,0,1]
	v_pk_mul_f32 v[8:9], v[72:73], v[6:7]
	v_mov_b32_e32 v59, v61
	v_pk_fma_f32 v[62:63], v[244:245], v[6:7], v[8:9] op_sel:[0,0,1] op_sel_hi:[1,1,0]
	v_pk_fma_f32 v[70:71], v[244:245], v[6:7], v[8:9] op_sel:[0,0,1] op_sel_hi:[1,1,0] neg_lo:[0,0,1] neg_hi:[0,0,1]
	ds_read2_b64 v[6:9], v10 offset0:98 offset1:149
	v_pk_add_f32 v[56:57], v[58:59], v[54:55] neg_lo:[0,1] neg_hi:[0,1]
	v_mov_b32_e32 v63, v71
	v_pk_mul_f32 v[56:57], v[56:57], s[0:1] op_sel_hi:[1,0]
	s_mov_b32 s14, s17
	s_waitcnt lgkmcnt(0)
	v_pk_mul_f32 v[14:15], v[74:75], v[8:9]
	s_mov_b32 s20, 0xbf248dbb
	v_pk_fma_f32 v[72:73], v[248:249], v[8:9], v[14:15] op_sel:[0,0,1] op_sel_hi:[1,1,0]
	v_pk_fma_f32 v[74:75], v[248:249], v[8:9], v[14:15] op_sel:[0,0,1] op_sel_hi:[1,1,0] neg_lo:[0,0,1] neg_hi:[0,0,1]
	v_pk_mul_f32 v[8:9], v[92:93], v[6:7]
	v_mov_b32_e32 v73, v75
	v_pk_fma_f32 v[76:77], v[174:175], v[6:7], v[8:9] op_sel:[0,0,1] op_sel_hi:[1,1,0]
	v_pk_fma_f32 v[78:79], v[174:175], v[6:7], v[8:9] op_sel:[0,0,1] op_sel_hi:[1,1,0] neg_lo:[0,0,1] neg_hi:[0,0,1]
	ds_read2_b64 v[6:9], v13 offset0:100 offset1:151
	v_accvgpr_read_b32 v78, a57
	v_mov_b32_e32 v77, v79
	v_pk_add_f32 v[70:71], v[62:63], v[72:73] neg_lo:[0,1] neg_hi:[0,1]
	s_waitcnt lgkmcnt(0)
	v_pk_mul_f32 v[14:15], v[90:91], v[8:9]
	s_nop 0
	v_pk_fma_f32 v[80:81], v[242:243], v[8:9], v[14:15] op_sel:[0,0,1] op_sel_hi:[1,1,0]
	v_pk_fma_f32 v[82:83], v[242:243], v[8:9], v[14:15] op_sel:[0,0,1] op_sel_hi:[1,1,0] neg_lo:[0,0,1] neg_hi:[0,0,1]
	v_pk_mul_f32 v[8:9], v[86:87], v[6:7]
	v_mov_b32_e32 v81, v83
	v_pk_fma_f32 v[84:85], v[250:251], v[6:7], v[8:9] op_sel:[0,0,1] op_sel_hi:[1,1,0]
	v_pk_fma_f32 v[86:87], v[250:251], v[6:7], v[8:9] op_sel:[0,0,1] op_sel_hi:[1,1,0] neg_lo:[0,0,1] neg_hi:[0,0,1]
	ds_read2_b64 v[6:9], v12 offset0:124 offset1:175
	v_mov_b32_e32 v85, v87
	v_pk_mul_f32 v[70:71], v[70:71], s[0:1] op_sel_hi:[1,0]
	s_waitcnt lgkmcnt(0)
	v_pk_mul_f32 v[14:15], v[88:89], v[8:9]
	s_nop 0
	v_pk_fma_f32 v[88:89], v[172:173], v[8:9], v[14:15] op_sel:[0,0,1] op_sel_hi:[1,1,0]
	v_pk_fma_f32 v[90:91], v[172:173], v[8:9], v[14:15] op_sel:[0,0,1] op_sel_hi:[1,1,0] neg_lo:[0,0,1] neg_hi:[0,0,1]
	v_pk_mul_f32 v[8:9], v[26:27], v[6:7]
	v_add_u32_e32 v15, 0xc00, v168
	v_pk_fma_f32 v[92:93], v[64:65], v[6:7], v[8:9] op_sel:[0,0,1] op_sel_hi:[1,1,0]
	v_pk_fma_f32 v[64:65], v[64:65], v[6:7], v[8:9] op_sel:[0,0,1] op_sel_hi:[1,1,0] neg_lo:[0,0,1] neg_hi:[0,0,1]
	ds_read2_b64 v[6:9], v15 offset0:126 offset1:177
	v_add_u32_e32 v14, 0x800, v168
	v_mov_b32_e32 v93, v65
	v_mov_b32_e32 v89, v91
	s_waitcnt lgkmcnt(0)
	v_pk_mul_f32 v[24:25], v[24:25], v[8:9]
	s_nop 0
	v_pk_fma_f32 v[94:95], v[246:247], v[8:9], v[24:25] op_sel:[0,0,1] op_sel_hi:[1,1,0]
	v_pk_fma_f32 v[96:97], v[246:247], v[8:9], v[24:25] op_sel:[0,0,1] op_sel_hi:[1,1,0] neg_lo:[0,0,1] neg_hi:[0,0,1]
	v_pk_mul_f32 v[8:9], v[42:43], v[6:7]
	v_mov_b32_e32 v95, v97
	v_pk_fma_f32 v[98:99], v[180:181], v[6:7], v[8:9] op_sel:[0,0,1] op_sel_hi:[1,1,0]
	v_pk_fma_f32 v[100:101], v[180:181], v[6:7], v[8:9] op_sel:[0,0,1] op_sel_hi:[1,1,0] neg_lo:[0,0,1] neg_hi:[0,0,1]
	ds_read2_b64 v[6:9], v11 offset0:150 offset1:201
	v_mov_b32_e32 v99, v101
	v_accvgpr_read_b32 v97, a87
	v_accvgpr_read_b32 v96, a86
	s_waitcnt lgkmcnt(0)
	v_pk_mul_f32 v[24:25], v[44:45], v[8:9]
	s_nop 0
	v_pk_fma_f32 v[102:103], v[66:67], v[8:9], v[24:25] op_sel:[0,0,1] op_sel_hi:[1,1,0]
	v_pk_fma_f32 v[66:67], v[66:67], v[8:9], v[24:25] op_sel:[0,0,1] op_sel_hi:[1,1,0] neg_lo:[0,0,1] neg_hi:[0,0,1]
	v_pk_mul_f32 v[8:9], v[40:41], v[6:7]
	v_mov_b32_e32 v103, v67
	v_pk_fma_f32 v[36:37], v[68:69], v[6:7], v[8:9] op_sel:[0,0,1] op_sel_hi:[1,1,0]
	v_pk_fma_f32 v[24:25], v[68:69], v[6:7], v[8:9] op_sel:[0,0,1] op_sel_hi:[1,1,0] neg_lo:[0,0,1] neg_hi:[0,0,1]
	ds_read_b64 v[6:7], v168 offset:10608
	v_mov_b32_e32 v37, v25
	s_waitcnt lgkmcnt(0)
	v_pk_mul_f32 v[8:9], v[106:107], v[6:7]
	s_nop 0
	v_pk_fma_f32 v[68:69], v[238:239], v[6:7], v[8:9] op_sel:[0,0,1] op_sel_hi:[1,1,0]
	v_pk_fma_f32 v[104:105], v[238:239], v[6:7], v[8:9] op_sel:[0,0,1] op_sel_hi:[1,1,0] neg_lo:[0,0,1] neg_hi:[0,0,1]
	ds_read2_b64 v[6:9], v14 offset0:152 offset1:203
	v_mov_b32_e32 v69, v105
	s_waitcnt lgkmcnt(0)
	v_pk_mul_f32 v[26:27], v[38:39], v[8:9]
	s_nop 0
	v_pk_fma_f32 v[38:39], v[176:177], v[8:9], v[26:27] op_sel:[0,0,1] op_sel_hi:[1,1,0]
	v_pk_fma_f32 v[8:9], v[176:177], v[8:9], v[26:27] op_sel:[0,0,1] op_sel_hi:[1,1,0] neg_lo:[0,0,1] neg_hi:[0,0,1]
	ds_read2_b64 v[24:27], v168 offset1:51
	v_mov_b32_e32 v39, v9
	v_pk_add_f32 v[40:41], v[38:39], v[36:37]
	s_waitcnt lgkmcnt(0)
	v_pk_add_f32 v[8:9], v[24:25], v[38:39]
	s_nop 0
	v_pk_add_f32 v[8:9], v[8:9], v[36:37]
	v_pk_add_f32 v[36:37], v[38:39], v[36:37] neg_lo:[0,1] neg_hi:[0,1]
	v_pk_fma_f32 v[24:25], v[40:41], 0.5, v[24:25] op_sel_hi:[1,0,1] neg_lo:[1,0,0] neg_hi:[1,0,0]
	v_pk_mul_f32 v[36:37], v[36:37], s[0:1] op_sel_hi:[1,0]
	s_nop 0
	v_pk_add_f32 v[106:107], v[24:25], v[36:37] op_sel:[0,1] op_sel_hi:[1,0] neg_lo:[0,1] neg_hi:[0,1]
	v_pk_add_f32 v[24:25], v[24:25], v[36:37] op_sel:[0,1] op_sel_hi:[1,0]
	v_mov_b32_e32 v108, v106
	v_mov_b32_e32 v109, v25
	ds_read2_b64 v[36:39], v14 offset0:50 offset1:101
	ds_read2_b64 v[40:43], v168 offset0:204 offset1:255
	;; [unrolled: 1-line block ×3, first 2 shown]
	s_waitcnt lgkmcnt(0)
	; wave barrier
	s_waitcnt lgkmcnt(0)
	ds_write2_b64 v1, v[8:9], v[108:109] offset1:17
	v_mov_b32_e32 v25, v107
	v_pk_add_f32 v[8:9], v[98:99], v[102:103]
	ds_write_b64 v1, v[24:25] offset:272
	v_pk_fma_f32 v[8:9], v[8:9], 0.5, v[26:27] op_sel_hi:[1,0,1] neg_lo:[1,0,0] neg_hi:[1,0,0]
	v_pk_add_f32 v[24:25], v[26:27], v[98:99]
	v_pk_add_f32 v[26:27], v[98:99], v[102:103] neg_lo:[0,1] neg_hi:[0,1]
	v_pk_add_f32 v[24:25], v[24:25], v[102:103]
	v_pk_mul_f32 v[26:27], v[26:27], s[0:1] op_sel_hi:[1,0]
	v_mov_b32_e32 v1, v49
	v_pk_add_f32 v[66:67], v[8:9], v[26:27] op_sel:[0,1] op_sel_hi:[1,0] neg_lo:[0,1] neg_hi:[0,1]
	v_pk_add_f32 v[26:27], v[8:9], v[26:27] op_sel:[0,1] op_sel_hi:[1,0]
	v_mov_b32_e32 v8, v66
	v_mov_b32_e32 v9, v27
	;; [unrolled: 1-line block ×3, first 2 shown]
	ds_write2_b64 v78, v[24:25], v[8:9] offset1:17
	ds_write_b64 v78, v[26:27] offset:272
	v_pk_add_f32 v[78:79], v[94:95], v[92:93]
	v_pk_add_f32 v[26:27], v[44:45], v[94:95]
	v_pk_fma_f32 v[44:45], v[78:79], 0.5, v[44:45] op_sel_hi:[1,0,1] neg_lo:[1,0,0] neg_hi:[1,0,0]
	v_pk_add_f32 v[78:79], v[94:95], v[92:93] neg_lo:[0,1] neg_hi:[0,1]
	v_pk_add_f32 v[26:27], v[26:27], v[92:93]
	v_pk_mul_f32 v[78:79], v[78:79], s[0:1] op_sel_hi:[1,0]
	v_pk_add_f32 v[8:9], v[0:1], v[68:69]
	v_pk_add_f32 v[82:83], v[44:45], v[78:79] op_sel:[0,1] op_sel_hi:[1,0] neg_lo:[0,1] neg_hi:[0,1]
	v_pk_add_f32 v[44:45], v[44:45], v[78:79] op_sel:[0,1] op_sel_hi:[1,0]
	v_mov_b32_e32 v78, v82
	v_mov_b32_e32 v79, v45
	v_accvgpr_read_b32 v82, a56
	v_mov_b32_e32 v45, v83
	ds_write2_b64 v82, v[26:27], v[78:79] offset1:17
	ds_write_b64 v82, v[44:45] offset:272
	v_pk_add_f32 v[26:27], v[84:85], v[88:89]
	v_pk_add_f32 v[44:45], v[84:85], v[88:89] neg_lo:[0,1] neg_hi:[0,1]
	v_pk_add_f32 v[24:25], v[0:1], v[68:69] neg_lo:[0,1] neg_hi:[0,1]
	v_pk_fma_f32 v[26:27], v[26:27], 0.5, v[46:47] op_sel_hi:[1,0,1] neg_lo:[1,0,0] neg_hi:[1,0,0]
	v_pk_mul_f32 v[44:45], v[44:45], s[0:1] op_sel_hi:[1,0]
	v_pk_fma_f32 v[8:9], v[8:9], 0.5, v[6:7] op_sel_hi:[1,0,1] neg_lo:[1,0,0] neg_hi:[1,0,0]
	v_pk_mul_f32 v[24:25], v[24:25], s[0:1] op_sel_hi:[1,0]
	v_pk_add_f32 v[66:67], v[46:47], v[84:85]
	v_pk_add_f32 v[46:47], v[26:27], v[44:45] op_sel:[0,1] op_sel_hi:[1,0] neg_lo:[0,1] neg_hi:[0,1]
	v_pk_add_f32 v[26:27], v[26:27], v[44:45] op_sel:[0,1] op_sel_hi:[1,0]
	v_pk_add_f32 v[48:49], v[8:9], v[24:25] op_sel:[0,1] op_sel_hi:[1,0]
	v_pk_add_f32 v[24:25], v[8:9], v[24:25] op_sel:[0,1] op_sel_hi:[1,0] neg_lo:[0,1] neg_hi:[0,1]
	v_pk_add_f32 v[8:9], v[2:3], v[4:5]
	v_mov_b32_e32 v44, v46
	v_mov_b32_e32 v45, v27
	v_accvgpr_read_b32 v46, a55
	v_mov_b32_e32 v27, v47
	v_pk_fma_f32 v[8:9], v[8:9], 0.5, v[38:39] op_sel_hi:[1,0,1] neg_lo:[1,0,0] neg_hi:[1,0,0]
	ds_write_b64 v46, v[26:27] offset:272
	v_pk_add_f32 v[26:27], v[80:81], v[76:77]
	v_pk_add_f32 v[52:53], v[8:9], v[50:51] op_sel:[0,1] op_sel_hi:[1,0]
	v_pk_add_f32 v[50:51], v[8:9], v[50:51] op_sel:[0,1] op_sel_hi:[1,0] neg_lo:[0,1] neg_hi:[0,1]
	v_pk_add_f32 v[8:9], v[58:59], v[54:55]
	v_pk_add_f32 v[64:65], v[40:41], v[80:81]
	v_pk_fma_f32 v[26:27], v[26:27], 0.5, v[40:41] op_sel_hi:[1,0,1] neg_lo:[1,0,0] neg_hi:[1,0,0]
	v_pk_add_f32 v[40:41], v[80:81], v[76:77] neg_lo:[0,1] neg_hi:[0,1]
	v_pk_fma_f32 v[8:9], v[8:9], 0.5, v[36:37] op_sel_hi:[1,0,1] neg_lo:[1,0,0] neg_hi:[1,0,0]
	v_pk_add_f32 v[66:67], v[66:67], v[88:89]
	v_pk_mul_f32 v[40:41], v[40:41], s[0:1] op_sel_hi:[1,0]
	v_pk_add_f32 v[60:61], v[8:9], v[56:57] op_sel:[0,1] op_sel_hi:[1,0]
	v_pk_add_f32 v[56:57], v[8:9], v[56:57] op_sel:[0,1] op_sel_hi:[1,0] neg_lo:[0,1] neg_hi:[0,1]
	v_pk_add_f32 v[8:9], v[62:63], v[72:73]
	ds_write2_b64 v46, v[66:67], v[44:45] offset1:17
	v_pk_add_f32 v[44:45], v[26:27], v[40:41] op_sel:[0,1] op_sel_hi:[1,0] neg_lo:[0,1] neg_hi:[0,1]
	v_pk_add_f32 v[26:27], v[26:27], v[40:41] op_sel:[0,1] op_sel_hi:[1,0]
	v_pk_fma_f32 v[8:9], v[8:9], 0.5, v[42:43] op_sel_hi:[1,0,1] neg_lo:[1,0,0] neg_hi:[1,0,0]
	v_mov_b32_e32 v40, v44
	v_mov_b32_e32 v41, v27
	v_accvgpr_read_b32 v44, a54
	v_mov_b32_e32 v27, v45
	v_pk_add_f32 v[74:75], v[8:9], v[70:71] op_sel:[0,1] op_sel_hi:[1,0]
	v_pk_add_f32 v[70:71], v[8:9], v[70:71] op_sel:[0,1] op_sel_hi:[1,0] neg_lo:[0,1] neg_hi:[0,1]
	v_pk_add_f32 v[64:65], v[64:65], v[76:77]
	ds_write_b64 v44, v[26:27] offset:272
	v_pk_add_f32 v[26:27], v[42:43], v[62:63]
	ds_write2_b64 v44, v[64:65], v[40:41] offset1:17
	v_pk_add_f32 v[26:27], v[26:27], v[72:73]
	v_mov_b32_e32 v40, v70
	v_mov_b32_e32 v41, v75
	v_accvgpr_read_b32 v42, a53
	ds_write2_b64 v42, v[26:27], v[40:41] offset1:17
	v_pk_add_f32 v[26:27], v[36:37], v[58:59]
	v_mov_b32_e32 v75, v71
	v_pk_add_f32 v[26:27], v[26:27], v[54:55]
	v_mov_b32_e32 v36, v56
	v_mov_b32_e32 v37, v61
	v_accvgpr_read_b32 v40, a52
	v_pk_add_f32 v[2:3], v[38:39], v[2:3]
	ds_write_b64 v42, v[74:75] offset:272
	ds_write2_b64 v40, v[26:27], v[36:37] offset1:17
	v_mov_b32_e32 v61, v57
	v_pk_add_f32 v[2:3], v[2:3], v[4:5]
	v_mov_b32_e32 v4, v50
	v_mov_b32_e32 v5, v53
	v_accvgpr_read_b32 v26, a29
	v_pk_add_f32 v[0:1], v[6:7], v[0:1]
	ds_write_b64 v40, v[60:61] offset:272
	ds_write2_b64 v26, v[2:3], v[4:5] offset1:17
	v_mov_b32_e32 v53, v51
	v_pk_add_f32 v[0:1], v[0:1], v[68:69]
	v_mov_b32_e32 v2, v24
	v_mov_b32_e32 v3, v49
	v_accvgpr_read_b32 v4, a21
	v_mov_b32_e32 v49, v25
	ds_write_b64 v26, v[52:53] offset:272
	ds_write2_b64 v4, v[0:1], v[2:3] offset1:17
	ds_write_b64 v4, v[48:49] offset:272
	s_waitcnt lgkmcnt(0)
	; wave barrier
	s_waitcnt lgkmcnt(0)
	ds_read2_b64 v[4:7], v168 offset1:51
	ds_read2_b64 v[0:3], v168 offset0:102 offset1:153
	ds_read2_b64 v[24:27], v14 offset0:50 offset1:101
	;; [unrolled: 1-line block ×8, first 2 shown]
	s_waitcnt lgkmcnt(7)
	v_pk_mul_f32 v[60:61], v[32:33], v[2:3]
	v_mov_b32_e32 v8, s2
	v_pk_fma_f32 v[62:63], v[166:167], v[2:3], v[60:61] op_sel:[0,0,1] op_sel_hi:[1,1,0]
	v_pk_fma_f32 v[2:3], v[166:167], v[2:3], v[60:61] op_sel:[0,0,1] op_sel_hi:[1,1,0] neg_lo:[0,0,1] neg_hi:[0,0,1]
	s_waitcnt lgkmcnt(6)
	v_pk_mul_f32 v[60:61], v[34:35], v[24:25]
	v_mov_b32_e32 v63, v3
	v_pk_fma_f32 v[64:65], v[220:221], v[24:25], v[60:61] op_sel:[0,0,1] op_sel_hi:[1,1,0]
	v_pk_fma_f32 v[24:25], v[220:221], v[24:25], v[60:61] op_sel:[0,0,1] op_sel_hi:[1,1,0] neg_lo:[0,0,1] neg_hi:[0,0,1]
	;; [unrolled: 5-line block ×3, first 2 shown]
	v_mov_b32_e32 v24, v25
	v_mov_b32_e32 v67, v39
	s_waitcnt lgkmcnt(4)
	v_pk_mul_f32 v[38:39], v[30:31], v[40:41]
	v_mov_b32_e32 v25, v62
	v_pk_fma_f32 v[60:61], v[224:225], v[40:41], v[38:39] op_sel:[0,0,1] op_sel_hi:[1,1,0]
	v_pk_fma_f32 v[38:39], v[224:225], v[40:41], v[38:39] op_sel:[0,0,1] op_sel_hi:[1,1,0] neg_lo:[0,0,1] neg_hi:[0,0,1]
	v_mov_b32_e32 v2, v3
	v_mov_b32_e32 v61, v39
	s_waitcnt lgkmcnt(3)
	v_pk_mul_f32 v[38:39], v[20:21], v[46:47]
	v_mov_b32_e32 v3, v64
	v_pk_fma_f32 v[40:41], v[226:227], v[46:47], v[38:39] op_sel:[0,0,1] op_sel_hi:[1,1,0]
	v_pk_fma_f32 v[38:39], v[226:227], v[46:47], v[38:39] op_sel:[0,0,1] op_sel_hi:[1,1,0] neg_lo:[0,0,1] neg_hi:[0,0,1]
	s_mov_b32 s2, 0x3eaf1d44
	v_mov_b32_e32 v41, v39
	s_waitcnt lgkmcnt(2)
	v_pk_mul_f32 v[38:39], v[22:23], v[48:49]
	v_pk_mul_f32 v[34:35], v[34:35], v[26:27]
	v_pk_fma_f32 v[46:47], v[228:229], v[48:49], v[38:39] op_sel:[0,0,1] op_sel_hi:[1,1,0]
	v_pk_fma_f32 v[38:39], v[228:229], v[48:49], v[38:39] op_sel:[0,0,1] op_sel_hi:[1,1,0] neg_lo:[0,0,1] neg_hi:[0,0,1]
	v_pk_fma_f32 v[104:105], v[220:221], v[26:27], v[34:35] op_sel:[0,0,1] op_sel_hi:[1,1,0]
	v_mov_b32_e32 v47, v39
	s_waitcnt lgkmcnt(1)
	v_pk_mul_f32 v[38:39], v[16:17], v[54:55]
	v_pk_add_f32 v[72:73], v[66:67], v[46:47]
	v_pk_fma_f32 v[48:49], v[230:231], v[54:55], v[38:39] op_sel:[0,0,1] op_sel_hi:[1,1,0]
	v_pk_fma_f32 v[38:39], v[230:231], v[54:55], v[38:39] op_sel:[0,0,1] op_sel_hi:[1,1,0] neg_lo:[0,0,1] neg_hi:[0,0,1]
	s_waitcnt lgkmcnt(0)
	v_pk_mul_f32 v[54:55], v[18:19], v[56:57]
	v_mov_b32_e32 v49, v39
	v_pk_fma_f32 v[68:69], v[232:233], v[56:57], v[54:55] op_sel:[0,0,1] op_sel_hi:[1,1,0]
	v_pk_fma_f32 v[54:55], v[232:233], v[56:57], v[54:55] op_sel:[0,0,1] op_sel_hi:[1,1,0] neg_lo:[0,0,1] neg_hi:[0,0,1]
	v_mov_b32_e32 v38, v39
	v_mov_b32_e32 v39, v68
	;; [unrolled: 1-line block ×5, first 2 shown]
	v_pk_add_f32 v[24:25], v[24:25], v[38:39] neg_lo:[0,1] neg_hi:[0,1]
	v_pk_add_f32 v[2:3], v[2:3], v[54:55] neg_lo:[0,1] neg_hi:[0,1]
	;; [unrolled: 1-line block ×3, first 2 shown]
	v_pk_mul_f32 v[46:47], v[24:25], s[18:19]
	v_pk_add_f32 v[56:57], v[62:63], v[68:69]
	v_pk_add_f32 v[70:71], v[64:65], v[48:49]
	v_pk_mul_f32 v[38:39], v[38:39], s[0:1] op_sel_hi:[1,0]
	v_pk_fma_f32 v[46:47], v[2:3], s[16:17], v[46:47]
	v_pk_add_f32 v[48:49], v[60:61], v[40:41] neg_lo:[0,1] neg_hi:[0,1]
	v_pk_add_f32 v[74:75], v[70:71], v[56:57]
	v_pk_add_f32 v[46:47], v[38:39], v[46:47] op_sel:[1,0] op_sel_hi:[0,1]
	v_pk_mul_f32 v[54:55], v[48:49], s[2:3] op_sel_hi:[1,0]
	v_pk_add_f32 v[76:77], v[72:73], v[74:75]
	v_pk_add_f32 v[46:47], v[54:55], v[46:47] op_sel:[1,0] op_sel_hi:[0,1]
	v_pk_fma_f32 v[54:55], v[56:57], s[10:11], v[4:5] op_sel_hi:[1,0,1]
	v_pk_add_f32 v[76:77], v[60:61], v[76:77]
	v_pk_fma_f32 v[54:55], v[70:71], s[8:9], v[54:55] op_sel_hi:[1,0,1]
	v_pk_add_f32 v[76:77], v[40:41], v[76:77]
	v_pk_fma_f32 v[54:55], v[72:73], 0.5, v[54:55] op_sel_hi:[1,0,1] neg_lo:[1,0,0] neg_hi:[1,0,0]
	v_pk_add_f32 v[40:41], v[60:61], v[40:41]
	v_mov_b32_e32 v66, v24
	v_pk_fma_f32 v[54:55], v[40:41], s[12:13], v[54:55] op_sel_hi:[1,0,1] neg_lo:[1,0,0] neg_hi:[1,0,0]
	v_pk_fma_f32 v[68:69], v[40:41], s[10:11], v[4:5] op_sel_hi:[1,0,1]
	v_pk_add_f32 v[60:61], v[54:55], v[46:47] neg_lo:[0,1] neg_hi:[0,1]
	v_pk_add_f32 v[62:63], v[54:55], v[46:47]
	v_fma_f32 v64, 2.0, v46, v60
	v_fma_f32 v65, -2.0, v47, v63
	v_pk_mul_f32 v[46:47], v[48:49], s[16:17] op_sel_hi:[1,0]
	v_mov_b32_e32 v54, v2
	v_mov_b32_e32 v55, v25
	v_pk_fma_f32 v[46:47], v[54:55], s[14:15], v[46:47] op_sel:[0,0,1] op_sel_hi:[1,0,0] neg_lo:[0,0,1] neg_hi:[0,0,1]
	v_pk_fma_f32 v[68:69], v[56:57], s[8:9], v[68:69] op_sel_hi:[1,0,1]
	v_pk_add_f32 v[46:47], v[46:47], v[38:39] op_sel:[0,1] op_sel_hi:[1,0] neg_lo:[0,1] neg_hi:[0,1]
	v_mov_b32_e32 v67, v3
	v_pk_fma_f32 v[68:69], v[72:73], 0.5, v[68:69] op_sel_hi:[1,0,1] neg_lo:[1,0,0] neg_hi:[1,0,0]
	v_pk_fma_f32 v[46:47], v[66:67], s[2:3], v[46:47] op_sel_hi:[1,0,1]
	v_pk_fma_f32 v[68:69], v[70:71], s[12:13], v[68:69] op_sel_hi:[1,0,1] neg_lo:[1,0,0] neg_hi:[1,0,0]
	v_pk_add_f32 v[76:77], v[76:77], v[4:5]
	v_pk_add_f32 v[78:79], v[68:69], v[46:47] neg_lo:[0,1] neg_hi:[0,1]
	v_pk_add_f32 v[68:69], v[68:69], v[46:47]
	v_fma_f32 v80, 2.0, v46, v78
	v_fma_f32 v81, -2.0, v47, v69
	v_mov_b32_e32 v46, v25
	v_mov_b32_e32 v47, v2
	;; [unrolled: 1-line block ×4, first 2 shown]
	v_pk_add_f32 v[46:47], v[48:49], v[46:47]
	v_pk_add_f32 v[24:25], v[72:73], v[4:5]
	v_pk_add_f32 v[2:3], v[46:47], v[2:3] neg_lo:[0,1] neg_hi:[0,1]
	v_pk_add_f32 v[46:47], v[40:41], v[74:75]
	v_pk_mul_f32 v[2:3], v[2:3], s[0:1] op_sel_hi:[1,0]
	v_pk_fma_f32 v[24:25], v[46:47], 0.5, v[24:25] op_sel_hi:[1,0,1] neg_lo:[1,0,0] neg_hi:[1,0,0]
	v_pk_fma_f32 v[26:27], v[220:221], v[26:27], v[34:35] op_sel:[0,0,1] op_sel_hi:[1,1,0] neg_lo:[0,0,1] neg_hi:[0,0,1]
	v_pk_add_f32 v[74:75], v[24:25], v[2:3] op_sel:[0,1] op_sel_hi:[1,0] neg_lo:[0,1] neg_hi:[0,1]
	v_pk_add_f32 v[24:25], v[24:25], v[2:3] op_sel:[0,1] op_sel_hi:[1,0]
	v_fma_f32 v82, 2.0, v3, v74
	v_fma_f32 v83, -2.0, v2, v25
	v_pk_fma_f32 v[2:3], v[70:71], s[10:11], v[4:5] op_sel_hi:[1,0,1]
	v_pk_mul_f32 v[4:5], v[48:49], s[14:15] op_sel_hi:[1,0]
	v_pk_fma_f32 v[2:3], v[40:41], s[8:9], v[2:3] op_sel_hi:[1,0,1]
	v_pk_fma_f32 v[4:5], v[66:67], s[20:21], v[4:5] op_sel:[0,0,1] op_sel_hi:[1,0,0] neg_lo:[0,0,1] neg_hi:[0,0,1]
	v_pk_fma_f32 v[2:3], v[72:73], 0.5, v[2:3] op_sel_hi:[1,0,1] neg_lo:[1,0,0] neg_hi:[1,0,0]
	v_pk_add_f32 v[4:5], v[38:39], v[4:5] op_sel:[1,0] op_sel_hi:[0,1]
	v_pk_fma_f32 v[4:5], v[54:55], s[2:3], v[4:5] op_sel_hi:[1,0,1]
	v_pk_fma_f32 v[2:3], v[56:57], s[12:13], v[2:3] op_sel_hi:[1,0,1] neg_lo:[1,0,0] neg_hi:[1,0,0]
	v_accvgpr_read_b32 v24, a92
	v_pk_add_f32 v[66:67], v[2:3], v[4:5] neg_lo:[0,1] neg_hi:[0,1]
	v_pk_add_f32 v[70:71], v[2:3], v[4:5]
	v_fma_f32 v72, 2.0, v4, v66
	v_fma_f32 v73, -2.0, v5, v71
	ds_read2_b64 v[2:5], v168 offset0:204 offset1:255
	ds_read2_b64 v[38:41], v15 offset0:126 offset1:177
	v_accvgpr_read_b32 v54, a98
	v_pk_mul_f32 v[46:47], v[24:25], v[36:37] op_sel_hi:[0,1]
	v_accvgpr_read_b32 v55, a99
	v_pk_fma_f32 v[84:85], v[54:55], v[36:37], v[46:47] op_sel:[1,0,1] op_sel_hi:[1,1,0]
	v_pk_fma_f32 v[36:37], v[54:55], v[36:37], v[46:47] op_sel:[1,0,1] op_sel_hi:[1,1,0] neg_lo:[0,0,1] neg_hi:[0,0,1]
	ds_read2_b64 v[46:49], v11 offset0:48 offset1:99
	s_waitcnt lgkmcnt(2)
	v_pk_mul_f32 v[54:55], v[54:55], v[4:5] op_sel_hi:[0,1]
	v_accvgpr_read_b32 v24, a84
	v_pk_fma_f32 v[86:87], v[24:25], v[4:5], v[54:55] op_sel:[0,0,1] op_sel_hi:[1,1,0]
	v_pk_fma_f32 v[4:5], v[24:25], v[4:5], v[54:55] op_sel:[0,0,1] op_sel_hi:[0,1,0] neg_lo:[0,0,1] neg_hi:[0,0,1]
	s_waitcnt lgkmcnt(1)
	v_pk_mul_f32 v[54:55], v[120:121], v[40:41] op_sel:[1,0]
	v_pk_mul_f32 v[28:29], v[28:29], v[38:39]
	v_pk_fma_f32 v[88:89], v[120:121], v[40:41], v[54:55] op_sel:[0,0,1] op_sel_hi:[1,1,0]
	v_pk_fma_f32 v[40:41], v[120:121], v[40:41], v[54:55] op_sel:[0,0,1] op_sel_hi:[0,1,0] neg_lo:[0,0,1] neg_hi:[0,0,1]
	v_pk_mul_f32 v[54:55], v[122:123], v[44:45]
	v_pk_fma_f32 v[34:35], v[222:223], v[38:39], v[28:29] op_sel:[0,0,1] op_sel_hi:[1,1,0]
	v_pk_fma_f32 v[28:29], v[222:223], v[38:39], v[28:29] op_sel:[0,0,1] op_sel_hi:[1,1,0] neg_lo:[0,0,1] neg_hi:[0,0,1]
	v_pk_fma_f32 v[90:91], v[216:217], v[44:45], v[54:55] op_sel:[0,0,1] op_sel_hi:[1,1,0]
	v_pk_fma_f32 v[44:45], v[216:217], v[44:45], v[54:55] op_sel:[0,0,1] op_sel_hi:[1,1,0] neg_lo:[0,0,1] neg_hi:[0,0,1]
	ds_read2_b64 v[54:57], v10 offset0:98 offset1:149
	ds_read_b64 v[92:93], v168 offset:10608
	v_mov_b32_e32 v35, v29
	v_pk_mul_f32 v[28:29], v[30:31], v[42:43]
	s_waitcnt lgkmcnt(2)
	v_pk_mul_f32 v[20:21], v[20:21], v[46:47]
	v_pk_fma_f32 v[30:31], v[224:225], v[42:43], v[28:29] op_sel:[0,0,1] op_sel_hi:[1,1,0]
	v_pk_fma_f32 v[28:29], v[224:225], v[42:43], v[28:29] op_sel:[0,0,1] op_sel_hi:[1,1,0] neg_lo:[0,0,1] neg_hi:[0,0,1]
	v_pk_mul_f32 v[32:33], v[32:33], v[2:3]
	v_mov_b32_e32 v31, v29
	v_pk_fma_f32 v[28:29], v[226:227], v[46:47], v[20:21] op_sel:[0,0,1] op_sel_hi:[1,1,0]
	v_pk_fma_f32 v[20:21], v[226:227], v[46:47], v[20:21] op_sel:[0,0,1] op_sel_hi:[1,1,0] neg_lo:[0,0,1] neg_hi:[0,0,1]
	s_waitcnt lgkmcnt(1)
	v_pk_mul_f32 v[16:17], v[16:17], v[54:55]
	v_mov_b32_e32 v29, v21
	v_pk_mul_f32 v[20:21], v[22:23], v[50:51]
	v_pk_mul_f32 v[18:19], v[18:19], v[58:59]
	v_pk_fma_f32 v[22:23], v[228:229], v[50:51], v[20:21] op_sel:[0,0,1] op_sel_hi:[1,1,0]
	v_pk_fma_f32 v[20:21], v[228:229], v[50:51], v[20:21] op_sel:[0,0,1] op_sel_hi:[1,1,0] neg_lo:[0,0,1] neg_hi:[0,0,1]
	v_pk_fma_f32 v[102:103], v[166:167], v[2:3], v[32:33] op_sel:[0,0,1] op_sel_hi:[1,1,0]
	v_pk_fma_f32 v[2:3], v[166:167], v[2:3], v[32:33] op_sel:[0,0,1] op_sel_hi:[1,1,0] neg_lo:[0,0,1] neg_hi:[0,0,1]
	v_mov_b32_e32 v23, v21
	v_pk_fma_f32 v[20:21], v[230:231], v[54:55], v[16:17] op_sel:[0,0,1] op_sel_hi:[1,1,0]
	v_pk_fma_f32 v[38:39], v[232:233], v[58:59], v[18:19] op_sel:[0,0,1] op_sel_hi:[1,1,0]
	v_pk_fma_f32 v[18:19], v[232:233], v[58:59], v[18:19] op_sel:[0,0,1] op_sel_hi:[1,1,0] neg_lo:[0,0,1] neg_hi:[0,0,1]
	v_mov_b32_e32 v103, v3
	v_pk_fma_f32 v[16:17], v[230:231], v[54:55], v[16:17] op_sel:[0,0,1] op_sel_hi:[1,1,0] neg_lo:[0,0,1] neg_hi:[0,0,1]
	v_mov_b32_e32 v39, v19
	v_mov_b32_e32 v2, v3
	;; [unrolled: 1-line block ×6, first 2 shown]
	v_pk_add_f32 v[2:3], v[2:3], v[18:19] neg_lo:[0,1] neg_hi:[0,1]
	v_mov_b32_e32 v18, v27
	v_mov_b32_e32 v19, v102
	;; [unrolled: 1-line block ×5, first 2 shown]
	v_pk_add_f32 v[42:43], v[102:103], v[38:39]
	v_pk_add_f32 v[16:17], v[18:19], v[16:17] neg_lo:[0,1] neg_hi:[0,1]
	v_pk_add_f32 v[46:47], v[104:105], v[20:21]
	v_pk_add_f32 v[18:19], v[34:35], v[22:23] neg_lo:[0,1] neg_hi:[0,1]
	v_pk_mul_f32 v[20:21], v[16:17], s[18:19]
	v_pk_fma_f32 v[26:27], v[42:43], s[10:11], v[6:7] op_sel_hi:[1,0,1]
	v_pk_add_f32 v[50:51], v[34:35], v[22:23]
	v_pk_mul_f32 v[18:19], v[18:19], s[0:1] op_sel_hi:[1,0]
	v_pk_fma_f32 v[20:21], v[2:3], s[16:17], v[20:21]
	v_pk_fma_f32 v[26:27], v[46:47], s[8:9], v[26:27] op_sel_hi:[1,0,1]
	v_pk_add_f32 v[20:21], v[18:19], v[20:21] op_sel:[1,0] op_sel_hi:[0,1]
	v_pk_add_f32 v[22:23], v[30:31], v[28:29] neg_lo:[0,1] neg_hi:[0,1]
	v_pk_fma_f32 v[26:27], v[50:51], 0.5, v[26:27] op_sel_hi:[1,0,1] neg_lo:[1,0,0] neg_hi:[1,0,0]
	v_pk_add_f32 v[34:35], v[30:31], v[28:29]
	v_pk_fma_f32 v[20:21], v[22:23], s[2:3], v[20:21] op_sel:[1,0,0] op_sel_hi:[0,0,1]
	v_pk_fma_f32 v[26:27], v[34:35], s[12:13], v[26:27] op_sel_hi:[1,0,1] neg_lo:[1,0,0] neg_hi:[1,0,0]
	v_mov_b32_e32 v75, v25
	v_pk_add_f32 v[38:39], v[26:27], v[20:21] neg_lo:[0,1] neg_hi:[0,1]
	v_pk_add_f32 v[26:27], v[26:27], v[20:21]
	v_pk_fma_f32 v[54:55], v[20:21], 2.0, v[38:39] op_sel_hi:[1,0,1]
	v_pk_fma_f32 v[20:21], v[20:21], 2.0, v[26:27] op_sel_hi:[1,0,1] neg_lo:[1,0,0] neg_hi:[1,0,0]
	v_mov_b32_e32 v39, v27
	v_mov_b32_e32 v24, v16
	v_mov_b32_e32 v25, v3
	v_pk_mul_f32 v[26:27], v[22:23], s[14:15] op_sel:[1,0] op_sel_hi:[0,0]
	v_pk_fma_f32 v[26:27], v[24:25], s[20:21], v[26:27] op_sel_hi:[1,0,1] neg_lo:[0,0,1] neg_hi:[0,0,1]
	v_mov_b32_e32 v3, v17
	v_pk_add_f32 v[26:27], v[18:19], v[26:27] op_sel:[1,0] op_sel_hi:[0,1]
	v_pk_fma_f32 v[16:17], v[2:3], s[2:3], v[26:27] op_sel_hi:[1,0,1]
	v_pk_fma_f32 v[26:27], v[46:47], s[10:11], v[6:7] op_sel_hi:[1,0,1]
	v_mov_b32_e32 v61, v63
	v_pk_fma_f32 v[26:27], v[34:35], s[8:9], v[26:27] op_sel_hi:[1,0,1]
	v_mov_b32_e32 v79, v69
	v_pk_fma_f32 v[26:27], v[50:51], 0.5, v[26:27] op_sel_hi:[1,0,1] neg_lo:[1,0,0] neg_hi:[1,0,0]
	v_mov_b32_e32 v67, v71
	v_pk_fma_f32 v[26:27], v[42:43], s[12:13], v[26:27] op_sel_hi:[1,0,1] neg_lo:[1,0,0] neg_hi:[1,0,0]
	s_waitcnt lgkmcnt(0)
	v_pk_add_f32 v[58:59], v[26:27], v[16:17] neg_lo:[0,1] neg_hi:[0,1]
	v_pk_add_f32 v[26:27], v[26:27], v[16:17]
	; wave barrier
	ds_write2_b64 v168, v[76:77], v[60:61] offset1:51
	ds_write2_b64 v168, v[78:79], v[74:75] offset0:102 offset1:153
	ds_write2_b64 v168, v[66:67], v[72:73] offset0:204 offset1:255
	;; [unrolled: 1-line block ×3, first 2 shown]
	v_pk_fma_f32 v[60:61], v[16:17], 2.0, v[58:59] op_sel_hi:[1,0,1]
	v_pk_fma_f32 v[16:17], v[16:17], 2.0, v[26:27] op_sel_hi:[1,0,1] neg_lo:[1,0,0] neg_hi:[1,0,0]
	v_pk_add_f32 v[66:67], v[46:47], v[42:43]
	v_accvgpr_read_b32 v94, a174
	v_mov_b32_e32 v61, v17
	v_pk_add_f32 v[16:17], v[22:23], v[2:3] op_sel:[1,0] op_sel_hi:[0,1]
	v_pk_add_f32 v[62:63], v[50:51], v[6:7]
	v_pk_add_f32 v[68:69], v[34:35], v[66:67]
	;; [unrolled: 1-line block ×3, first 2 shown]
	v_mov_b32_e32 v89, v41
	v_pk_mul_f32 v[40:41], v[110:111], v[48:49]
	v_accvgpr_read_b32 v95, a175
	v_pk_add_f32 v[16:17], v[16:17], v[24:25] neg_lo:[0,1] neg_hi:[0,1]
	v_pk_fma_f32 v[62:63], v[68:69], 0.5, v[62:63] op_sel_hi:[1,0,1] neg_lo:[1,0,0] neg_hi:[1,0,0]
	v_pk_add_f32 v[30:31], v[30:31], v[66:67]
	v_mov_b32_e32 v91, v45
	v_pk_fma_f32 v[44:45], v[94:95], v[48:49], v[40:41] op_sel:[0,0,1] op_sel_hi:[1,1,0]
	v_pk_fma_f32 v[40:41], v[94:95], v[48:49], v[40:41] op_sel:[0,0,1] op_sel_hi:[1,1,0] neg_lo:[0,0,1] neg_hi:[0,0,1]
	v_mov_b32_e32 v59, v27
	v_pk_mul_f32 v[26:27], v[16:17], s[0:1] op_sel_hi:[1,0]
	v_pk_fma_f32 v[68:69], v[16:17], s[0:1], v[62:63] op_sel_hi:[1,0,1] neg_lo:[1,0,0] neg_hi:[1,0,0]
	v_pk_fma_f32 v[16:17], v[16:17], s[0:1], v[62:63] op_sel_hi:[1,0,1]
	v_pk_add_f32 v[28:29], v[28:29], v[30:31]
	v_mov_b32_e32 v45, v41
	v_pk_mul_f32 v[40:41], v[112:113], v[52:53] op_sel:[1,0]
	v_pk_fma_f32 v[62:63], v[26:27], 2.0, v[68:69] op_sel_hi:[1,0,1]
	v_pk_fma_f32 v[26:27], v[26:27], 2.0, v[16:17] op_sel_hi:[1,0,1] neg_lo:[1,0,0] neg_hi:[1,0,0]
	v_pk_add_f32 v[28:29], v[28:29], v[6:7]
	v_mov_b32_e32 v69, v17
	v_pk_mul_f32 v[16:17], v[22:23], s[16:17] op_sel:[1,0] op_sel_hi:[0,0]
	v_pk_fma_f32 v[6:7], v[34:35], s[10:11], v[6:7] op_sel_hi:[1,0,1]
	v_pk_fma_f32 v[48:49], v[112:113], v[52:53], v[40:41] op_sel:[0,0,1] op_sel_hi:[1,1,0]
	v_pk_fma_f32 v[40:41], v[112:113], v[52:53], v[40:41] op_sel:[0,0,1] op_sel_hi:[0,1,0] neg_lo:[0,0,1] neg_hi:[0,0,1]
	v_pk_fma_f32 v[2:3], v[2:3], s[14:15], v[16:17] op_sel_hi:[1,0,1] neg_lo:[0,0,1] neg_hi:[0,0,1]
	v_pk_fma_f32 v[6:7], v[42:43], s[8:9], v[6:7] op_sel_hi:[1,0,1]
	v_mov_b32_e32 v49, v41
	v_pk_mul_f32 v[40:41], v[96:97], v[56:57] op_sel_hi:[0,1]
	v_accvgpr_read_b32 v4, a72
	v_pk_add_f32 v[2:3], v[2:3], v[18:19] op_sel:[0,1] op_sel_hi:[1,0] neg_lo:[0,1] neg_hi:[0,1]
	v_pk_fma_f32 v[6:7], v[50:51], 0.5, v[6:7] op_sel_hi:[1,0,1] neg_lo:[1,0,0] neg_hi:[1,0,0]
	v_pk_fma_f32 v[52:53], v[4:5], v[56:57], v[40:41] op_sel:[0,0,1] op_sel_hi:[1,1,0]
	v_pk_fma_f32 v[40:41], v[4:5], v[56:57], v[40:41] op_sel:[0,0,1] op_sel_hi:[0,1,0] neg_lo:[0,0,1] neg_hi:[0,0,1]
	v_accvgpr_read_b32 v4, a78
	v_pk_fma_f32 v[2:3], v[24:25], s[2:3], v[2:3] op_sel_hi:[1,0,1]
	v_pk_fma_f32 v[6:7], v[46:47], s[12:13], v[6:7] op_sel_hi:[1,0,1] neg_lo:[1,0,0] neg_hi:[1,0,0]
	v_pk_mul_f32 v[56:57], v[4:5], v[92:93] op_sel_hi:[0,1]
	v_pk_add_f32 v[16:17], v[6:7], v[2:3] neg_lo:[0,1] neg_hi:[0,1]
	v_pk_add_f32 v[6:7], v[6:7], v[2:3]
	v_pk_fma_f32 v[94:95], v[96:97], v[92:93], v[56:57] op_sel:[1,0,1] op_sel_hi:[1,1,0]
	v_pk_fma_f32 v[56:57], v[96:97], v[92:93], v[56:57] op_sel:[1,0,1] op_sel_hi:[1,1,0] neg_lo:[0,0,1] neg_hi:[0,0,1]
	v_pk_fma_f32 v[18:19], v[2:3], 2.0, v[16:17] op_sel_hi:[1,0,1]
	v_pk_fma_f32 v[2:3], v[2:3], 2.0, v[6:7] op_sel_hi:[1,0,1] neg_lo:[1,0,0] neg_hi:[1,0,0]
	v_mov_b32_e32 v87, v5
	v_mov_b32_e32 v19, v3
	;; [unrolled: 1-line block ×7, first 2 shown]
	v_pk_add_f32 v[2:3], v[2:3], v[4:5] neg_lo:[0,1] neg_hi:[0,1]
	v_mov_b32_e32 v4, v37
	v_mov_b32_e32 v5, v86
	;; [unrolled: 1-line block ×4, first 2 shown]
	v_pk_add_f32 v[4:5], v[4:5], v[6:7] neg_lo:[0,1] neg_hi:[0,1]
	ds_write2_b64 v15, v[38:39], v[16:17] offset0:126 offset1:177
	v_mov_b32_e32 v55, v21
	v_pk_add_f32 v[6:7], v[88:89], v[48:49] neg_lo:[0,1] neg_hi:[0,1]
	v_pk_mul_f32 v[16:17], v[4:5], s[18:19]
	v_mov_b32_e32 v95, v57
	ds_write2_b64 v11, v[18:19], v[54:55] offset0:48 offset1:99
	v_pk_mul_f32 v[6:7], v[6:7], s[0:1] op_sel_hi:[1,0]
	v_pk_fma_f32 v[16:17], v[2:3], s[16:17], v[16:17]
	v_pk_add_f32 v[18:19], v[90:91], v[44:45] neg_lo:[0,1] neg_hi:[0,1]
	v_mov_b32_e32 v85, v37
	v_mov_b32_e32 v53, v41
	v_pk_add_f32 v[92:93], v[86:87], v[94:95]
	v_pk_add_f32 v[16:17], v[6:7], v[16:17] op_sel:[1,0] op_sel_hi:[0,1]
	v_pk_mul_f32 v[20:21], v[18:19], s[2:3] op_sel_hi:[1,0]
	v_pk_add_f32 v[96:97], v[84:85], v[52:53]
	v_pk_add_f32 v[16:17], v[20:21], v[16:17] op_sel:[1,0] op_sel_hi:[0,1]
	v_pk_fma_f32 v[20:21], v[92:93], s[10:11], v[0:1] op_sel_hi:[1,0,1]
	v_pk_add_f32 v[98:99], v[88:89], v[48:49]
	v_pk_add_f32 v[100:101], v[96:97], v[92:93]
	v_pk_fma_f32 v[20:21], v[96:97], s[8:9], v[20:21] op_sel_hi:[1,0,1]
	v_pk_add_f32 v[32:33], v[98:99], v[100:101]
	v_pk_fma_f32 v[20:21], v[98:99], 0.5, v[20:21] op_sel_hi:[1,0,1] neg_lo:[1,0,0] neg_hi:[1,0,0]
	v_pk_add_f32 v[22:23], v[90:91], v[44:45]
	v_pk_add_f32 v[32:33], v[90:91], v[32:33]
	v_pk_fma_f32 v[20:21], v[22:23], s[12:13], v[20:21] op_sel_hi:[1,0,1] neg_lo:[1,0,0] neg_hi:[1,0,0]
	v_pk_add_f32 v[32:33], v[44:45], v[32:33]
	v_pk_add_f32 v[24:25], v[20:21], v[16:17] neg_lo:[0,1] neg_hi:[0,1]
	v_pk_add_f32 v[20:21], v[20:21], v[16:17]
	v_accvgpr_read_b32 v34, a58
	v_pk_add_f32 v[32:33], v[32:33], v[0:1]
	v_mov_b32_e32 v63, v27
	v_fma_f32 v20, 2.0, v16, v24
	v_mov_b32_e32 v25, v21
	v_add_u32_e32 v16, 0x1800, v34
	ds_write2_b64 v14, v[64:65], v[28:29] offset0:152 offset1:203
	ds_write2_b64 v13, v[68:69], v[58:59] offset0:100 offset1:151
	ds_write2_b64 v13, v[60:61], v[62:63] offset0:202 offset1:253
	v_fmac_f32_e32 v21, -2.0, v17
	ds_write2_b64 v16, v[32:33], v[24:25] offset0:150 offset1:201
	v_pk_mul_f32 v[16:17], v[18:19], s[16:17] op_sel_hi:[1,0]
	v_mov_b32_e32 v24, v2
	v_mov_b32_e32 v25, v5
	v_pk_fma_f32 v[28:29], v[22:23], s[10:11], v[0:1] op_sel_hi:[1,0,1]
	v_pk_fma_f32 v[16:17], v[24:25], s[14:15], v[16:17] op_sel:[0,0,1] op_sel_hi:[1,0,0] neg_lo:[0,0,1] neg_hi:[0,0,1]
	v_pk_fma_f32 v[28:29], v[92:93], s[8:9], v[28:29] op_sel_hi:[1,0,1]
	v_pk_add_f32 v[16:17], v[16:17], v[6:7] op_sel:[0,1] op_sel_hi:[1,0] neg_lo:[0,1] neg_hi:[0,1]
	v_mov_b32_e32 v26, v4
	v_mov_b32_e32 v27, v3
	v_pk_fma_f32 v[28:29], v[98:99], 0.5, v[28:29] op_sel_hi:[1,0,1] neg_lo:[1,0,0] neg_hi:[1,0,0]
	v_pk_fma_f32 v[16:17], v[26:27], s[2:3], v[16:17] op_sel_hi:[1,0,1]
	v_pk_fma_f32 v[28:29], v[96:97], s[12:13], v[28:29] op_sel_hi:[1,0,1] neg_lo:[1,0,0] neg_hi:[1,0,0]
	v_mov_b32_e32 v32, v5
	v_mov_b32_e32 v33, v2
	v_pk_add_f32 v[30:31], v[28:29], v[16:17] neg_lo:[0,1] neg_hi:[0,1]
	v_pk_add_f32 v[28:29], v[28:29], v[16:17]
	v_pk_add_f32 v[32:33], v[18:19], v[32:33]
	v_mov_b32_e32 v2, v3
	v_mov_b32_e32 v3, v4
	v_fma_f32 v28, 2.0, v16, v30
	v_mov_b32_e32 v31, v29
	v_fmac_f32_e32 v29, -2.0, v17
	v_pk_add_f32 v[16:17], v[98:99], v[0:1]
	v_pk_add_f32 v[2:3], v[32:33], v[2:3] neg_lo:[0,1] neg_hi:[0,1]
	v_pk_add_f32 v[4:5], v[22:23], v[100:101]
	v_pk_mul_f32 v[2:3], v[2:3], s[0:1] op_sel_hi:[1,0]
	v_pk_fma_f32 v[4:5], v[4:5], 0.5, v[16:17] op_sel_hi:[1,0,1] neg_lo:[1,0,0] neg_hi:[1,0,0]
	v_pk_fma_f32 v[0:1], v[96:97], s[10:11], v[0:1] op_sel_hi:[1,0,1]
	v_pk_add_f32 v[16:17], v[4:5], v[2:3] op_sel:[0,1] op_sel_hi:[1,0] neg_lo:[0,1] neg_hi:[0,1]
	v_pk_add_f32 v[4:5], v[4:5], v[2:3] op_sel:[0,1] op_sel_hi:[1,0]
	v_pk_fma_f32 v[0:1], v[22:23], s[8:9], v[0:1] op_sel_hi:[1,0,1]
	v_mov_b32_e32 v17, v5
	v_fmac_f32_e32 v5, -2.0, v2
	v_add_u32_e32 v2, 0x1c00, v34
	v_fma_f32 v4, 2.0, v3, v16
	ds_write2_b64 v2, v[30:31], v[16:17] offset0:124 offset1:175
	v_pk_mul_f32 v[2:3], v[18:19], s[14:15] op_sel_hi:[1,0]
	v_pk_fma_f32 v[0:1], v[98:99], 0.5, v[0:1] op_sel_hi:[1,0,1] neg_lo:[1,0,0] neg_hi:[1,0,0]
	v_pk_fma_f32 v[2:3], v[26:27], s[20:21], v[2:3] op_sel:[0,0,1] op_sel_hi:[1,0,0] neg_lo:[0,0,1] neg_hi:[0,0,1]
	v_pk_fma_f32 v[0:1], v[92:93], s[12:13], v[0:1] op_sel_hi:[1,0,1] neg_lo:[1,0,0] neg_hi:[1,0,0]
	v_pk_add_f32 v[2:3], v[6:7], v[2:3] op_sel:[1,0] op_sel_hi:[0,1]
	v_pk_fma_f32 v[2:3], v[24:25], s[2:3], v[2:3] op_sel_hi:[1,0,1]
	v_accvgpr_read_b32 v24, a132
	v_pk_add_f32 v[6:7], v[0:1], v[2:3] neg_lo:[0,1] neg_hi:[0,1]
	v_pk_add_f32 v[0:1], v[0:1], v[2:3]
	v_accvgpr_read_b32 v25, a133
	v_fma_f32 v0, 2.0, v2, v6
	v_mov_b32_e32 v7, v1
	v_fmac_f32_e32 v1, -2.0, v3
	v_add_u32_e32 v2, 0x2000, v34
	ds_write2_b64 v2, v[6:7], v[0:1] offset0:98 offset1:149
	ds_write2_b64 v2, v[4:5], v[28:29] offset0:200 offset1:251
	ds_write_b64 v34, v[20:21] offset:10608
	s_waitcnt lgkmcnt(0)
	; wave barrier
	s_waitcnt lgkmcnt(0)
	ds_read2_b64 v[2:5], v14 offset0:152 offset1:203
	ds_read2_b64 v[16:19], v168 offset1:51
	ds_read2_b64 v[20:23], v11 offset0:150 offset1:201
	v_accvgpr_read_b32 v26, a134
	v_accvgpr_read_b32 v27, a135
	;; [unrolled: 1-line block ×3, first 2 shown]
	s_waitcnt lgkmcnt(2)
	v_pk_mul_f32 v[6:7], v[24:25], v[4:5]
	s_waitcnt lgkmcnt(0)
	v_pk_mul_f32 v[24:25], v[26:27], v[20:21]
	v_pk_fma_f32 v[34:35], v[164:165], v[4:5], v[6:7] op_sel:[0,0,1] op_sel_hi:[1,1,0]
	v_pk_fma_f32 v[4:5], v[164:165], v[4:5], v[6:7] op_sel:[0,0,1] op_sel_hi:[1,1,0] neg_lo:[0,0,1] neg_hi:[0,0,1]
	v_pk_fma_f32 v[36:37], v[162:163], v[20:21], v[24:25] op_sel:[0,0,1] op_sel_hi:[1,1,0]
	v_mov_b32_e32 v35, v5
	ds_read2_b64 v[4:7], v15 offset0:126 offset1:177
	v_pk_fma_f32 v[20:21], v[162:163], v[20:21], v[24:25] op_sel:[0,0,1] op_sel_hi:[1,1,0] neg_lo:[0,0,1] neg_hi:[0,0,1]
	v_accvgpr_read_b32 v24, a146
	v_mov_b32_e32 v37, v21
	v_pk_add_f32 v[20:21], v[16:17], v[34:35]
	v_accvgpr_read_b32 v25, a147
	v_pk_add_f32 v[38:39], v[20:21], v[36:37]
	s_waitcnt lgkmcnt(0)
	v_pk_mul_f32 v[20:21], v[24:25], v[4:5]
	v_accvgpr_read_b32 v26, a148
	v_accvgpr_read_b32 v27, a149
	v_pk_fma_f32 v[40:41], v[144:145], v[4:5], v[20:21] op_sel:[0,0,1] op_sel_hi:[1,1,0]
	v_pk_fma_f32 v[4:5], v[144:145], v[4:5], v[20:21] op_sel:[0,0,1] op_sel_hi:[1,1,0] neg_lo:[0,0,1] neg_hi:[0,0,1]
	v_accvgpr_read_b32 v73, a117
	v_mov_b32_e32 v41, v5
	v_pk_mul_f32 v[4:5], v[26:27], v[22:23]
	v_accvgpr_read_b32 v74, a118
	v_pk_fma_f32 v[42:43], v[152:153], v[22:23], v[4:5] op_sel:[0,0,1] op_sel_hi:[1,1,0]
	v_pk_fma_f32 v[4:5], v[152:153], v[22:23], v[4:5] op_sel:[0,0,1] op_sel_hi:[1,1,0] neg_lo:[0,0,1] neg_hi:[0,0,1]
	ds_read2_b64 v[20:23], v168 offset0:102 offset1:153
	ds_read2_b64 v[24:27], v12 offset0:124 offset1:175
	v_mov_b32_e32 v43, v5
	v_pk_add_f32 v[4:5], v[18:19], v[40:41]
	v_accvgpr_read_b32 v75, a119
	v_pk_add_f32 v[44:45], v[4:5], v[42:43]
	v_pk_mul_f32 v[4:5], v[234:235], v[6:7]
	v_accvgpr_read_b32 v70, a28
	v_pk_fma_f32 v[28:29], v[154:155], v[6:7], v[4:5] op_sel:[0,0,1] op_sel_hi:[1,1,0]
	v_pk_fma_f32 v[4:5], v[154:155], v[6:7], v[4:5] op_sel:[0,0,1] op_sel_hi:[1,1,0] neg_lo:[0,0,1] neg_hi:[0,0,1]
	v_mov_b32_e32 v9, s3
	v_mov_b32_e32 v29, v5
	s_waitcnt lgkmcnt(0)
	v_pk_mul_f32 v[4:5], v[236:237], v[24:25]
	v_mad_u64_u32 v[0:1], s[2:3], s6, v70, 0
	v_pk_fma_f32 v[6:7], v[206:207], v[24:25], v[4:5] op_sel:[0,0,1] op_sel_hi:[1,1,0]
	v_pk_fma_f32 v[4:5], v[206:207], v[24:25], v[4:5] op_sel:[0,0,1] op_sel_hi:[1,1,0] neg_lo:[0,0,1] neg_hi:[0,0,1]
	v_mov_b32_e32 v32, v1
	v_mov_b32_e32 v7, v5
	v_pk_add_f32 v[4:5], v[20:21], v[28:29]
	s_movk_i32 s6, 0x2000
	v_pk_add_f32 v[46:47], v[4:5], v[6:7]
	v_pk_add_f32 v[4:5], v[28:29], v[6:7]
	s_nop 0
	v_pk_fma_f32 v[20:21], v[4:5], 0.5, v[20:21] op_sel_hi:[1,0,1] neg_lo:[1,0,0] neg_hi:[1,0,0]
	v_pk_add_f32 v[4:5], v[28:29], v[6:7] neg_lo:[0,1] neg_hi:[0,1]
	s_nop 0
	v_pk_mul_f32 v[24:25], v[4:5], s[0:1] op_sel_hi:[1,0]
	ds_read2_b64 v[4:7], v13 offset0:100 offset1:151
	v_pk_add_f32 v[28:29], v[20:21], v[24:25] op_sel:[0,1] op_sel_hi:[1,0] neg_lo:[0,1] neg_hi:[0,1]
	v_pk_add_f32 v[20:21], v[20:21], v[24:25] op_sel:[0,1] op_sel_hi:[1,0]
	v_mov_b32_e32 v48, v28
	v_mov_b32_e32 v49, v21
	s_waitcnt lgkmcnt(0)
	v_pk_mul_f32 v[24:25], v[182:183], v[4:5]
	v_mov_b32_e32 v21, v29
	v_pk_fma_f32 v[50:51], v[146:147], v[4:5], v[24:25] op_sel:[0,0,1] op_sel_hi:[1,1,0]
	v_pk_fma_f32 v[4:5], v[146:147], v[4:5], v[24:25] op_sel:[0,0,1] op_sel_hi:[1,1,0] neg_lo:[0,0,1] neg_hi:[0,0,1]
	s_nop 0
	v_mov_b32_e32 v51, v5
	v_pk_mul_f32 v[4:5], v[184:185], v[26:27]
	s_nop 0
	v_pk_fma_f32 v[52:53], v[148:149], v[26:27], v[4:5] op_sel:[0,0,1] op_sel_hi:[1,1,0]
	v_pk_fma_f32 v[4:5], v[148:149], v[26:27], v[4:5] op_sel:[0,0,1] op_sel_hi:[1,1,0] neg_lo:[0,0,1] neg_hi:[0,0,1]
	ds_read2_b64 v[24:27], v168 offset0:204 offset1:255
	ds_read2_b64 v[28:31], v10 offset0:98 offset1:149
	v_mov_b32_e32 v53, v5
	v_pk_add_f32 v[4:5], v[22:23], v[50:51]
	s_waitcnt lgkmcnt(0)
	v_pk_mul_f32 v[58:59], v[140:141], v[28:29]
	v_pk_add_f32 v[54:55], v[4:5], v[52:53]
	v_pk_mul_f32 v[4:5], v[138:139], v[6:7]
	v_pk_fma_f32 v[60:61], v[150:151], v[28:29], v[58:59] op_sel:[0,0,1] op_sel_hi:[1,1,0]
	v_pk_fma_f32 v[56:57], v[156:157], v[6:7], v[4:5] op_sel:[0,0,1] op_sel_hi:[1,1,0]
	v_pk_fma_f32 v[4:5], v[156:157], v[6:7], v[4:5] op_sel:[0,0,1] op_sel_hi:[1,1,0] neg_lo:[0,0,1] neg_hi:[0,0,1]
	v_pk_fma_f32 v[28:29], v[150:151], v[28:29], v[58:59] op_sel:[0,0,1] op_sel_hi:[1,1,0] neg_lo:[0,0,1] neg_hi:[0,0,1]
	v_mov_b32_e32 v57, v5
	ds_read2_b64 v[4:7], v13 offset0:202 offset1:253
	v_mov_b32_e32 v61, v29
	v_pk_add_f32 v[28:29], v[24:25], v[56:57]
	ds_write2_b64 v168, v[38:39], v[44:45] offset1:51
	ds_write2_b64 v168, v[46:47], v[54:55] offset0:102 offset1:153
	v_pk_add_f32 v[58:59], v[28:29], v[60:61]
	s_waitcnt lgkmcnt(2)
	v_pk_mul_f32 v[28:29], v[132:133], v[4:5]
	s_nop 0
	v_pk_fma_f32 v[62:63], v[158:159], v[4:5], v[28:29] op_sel:[0,0,1] op_sel_hi:[1,1,0]
	v_pk_fma_f32 v[4:5], v[158:159], v[4:5], v[28:29] op_sel:[0,0,1] op_sel_hi:[1,1,0] neg_lo:[0,0,1] neg_hi:[0,0,1]
	s_nop 0
	v_mov_b32_e32 v63, v5
	v_pk_mul_f32 v[4:5], v[134:135], v[30:31]
	s_nop 0
	v_pk_fma_f32 v[64:65], v[160:161], v[30:31], v[4:5] op_sel:[0,0,1] op_sel_hi:[1,1,0]
	v_pk_fma_f32 v[4:5], v[160:161], v[30:31], v[4:5] op_sel:[0,0,1] op_sel_hi:[1,1,0] neg_lo:[0,0,1] neg_hi:[0,0,1]
	s_nop 0
	v_mov_b32_e32 v65, v5
	v_pk_add_f32 v[4:5], v[26:27], v[62:63]
	s_nop 0
	v_pk_add_f32 v[66:67], v[4:5], v[64:65]
	v_pk_add_f32 v[4:5], v[50:51], v[52:53]
	s_nop 0
	v_pk_fma_f32 v[4:5], v[4:5], 0.5, v[22:23] op_sel_hi:[1,0,1] neg_lo:[1,0,0] neg_hi:[1,0,0]
	v_pk_add_f32 v[22:23], v[50:51], v[52:53] neg_lo:[0,1] neg_hi:[0,1]
	s_nop 0
	v_pk_mul_f32 v[22:23], v[22:23], s[0:1] op_sel_hi:[1,0]
	s_nop 0
	v_pk_add_f32 v[28:29], v[4:5], v[22:23] op_sel:[0,1] op_sel_hi:[1,0] neg_lo:[0,1] neg_hi:[0,1]
	v_pk_add_f32 v[4:5], v[4:5], v[22:23] op_sel:[0,1] op_sel_hi:[1,0]
	v_mov_b32_e32 v38, v28
	v_mov_b32_e32 v39, v5
	;; [unrolled: 1-line block ×3, first 2 shown]
	ds_write2_b64 v12, v[20:21], v[4:5] offset0:124 offset1:175
	v_pk_mul_f32 v[4:5], v[128:129], v[6:7]
	ds_read2_b64 v[20:23], v14 offset0:50 offset1:101
	ds_read2_b64 v[28:31], v10 offset0:200 offset1:251
	v_pk_fma_f32 v[44:45], v[186:187], v[6:7], v[4:5] op_sel:[0,0,1] op_sel_hi:[1,1,0]
	v_pk_fma_f32 v[4:5], v[186:187], v[6:7], v[4:5] op_sel:[0,0,1] op_sel_hi:[1,1,0] neg_lo:[0,0,1] neg_hi:[0,0,1]
	ds_write2_b64 v168, v[58:59], v[66:67] offset0:204 offset1:255
	v_mov_b32_e32 v45, v5
	ds_read2_b64 v[4:7], v11 offset0:48 offset1:99
	s_waitcnt lgkmcnt(2)
	v_pk_mul_f32 v[46:47], v[130:131], v[28:29]
	s_waitcnt lgkmcnt(0)
	v_pk_mul_f32 v[54:55], v[124:125], v[6:7]
	v_pk_fma_f32 v[50:51], v[210:211], v[28:29], v[46:47] op_sel:[0,0,1] op_sel_hi:[1,1,0]
	v_pk_fma_f32 v[28:29], v[210:211], v[28:29], v[46:47] op_sel:[0,0,1] op_sel_hi:[1,1,0] neg_lo:[0,0,1] neg_hi:[0,0,1]
	v_pk_mul_f32 v[46:47], v[72:73], v[4:5] op_sel:[1,0]
	v_pk_fma_f32 v[68:69], v[114:115], v[6:7], v[54:55] op_sel:[0,0,1] op_sel_hi:[1,1,0]
	v_pk_fma_f32 v[52:53], v[72:73], v[4:5], v[46:47] op_sel:[0,0,1] op_sel_hi:[1,1,0]
	v_pk_fma_f32 v[4:5], v[72:73], v[4:5], v[46:47] op_sel:[0,0,1] op_sel_hi:[0,1,0] neg_lo:[0,0,1] neg_hi:[0,0,1]
	v_mov_b32_e32 v53, v5
	v_pk_mul_f32 v[4:5], v[74:75], v[30:31] op_sel:[1,0]
	v_pk_fma_f32 v[6:7], v[114:115], v[6:7], v[54:55] op_sel:[0,0,1] op_sel_hi:[1,1,0] neg_lo:[0,0,1] neg_hi:[0,0,1]
	v_pk_fma_f32 v[46:47], v[74:75], v[30:31], v[4:5] op_sel:[0,0,1] op_sel_hi:[1,1,0]
	v_pk_fma_f32 v[4:5], v[74:75], v[30:31], v[4:5] op_sel:[0,0,1] op_sel_hi:[0,1,0] neg_lo:[0,0,1] neg_hi:[0,0,1]
	ds_read_b64 v[30:31], v168 offset:10608
	v_mov_b32_e32 v69, v7
	v_mov_b32_e32 v51, v29
	v_pk_add_f32 v[28:29], v[20:21], v[44:45]
	v_mov_b32_e32 v47, v5
	s_waitcnt lgkmcnt(0)
	v_pk_mul_f32 v[6:7], v[126:127], v[30:31]
	v_pk_add_f32 v[4:5], v[22:23], v[52:53]
	v_pk_fma_f32 v[54:55], v[142:143], v[30:31], v[6:7] op_sel:[0,0,1] op_sel_hi:[1,1,0]
	v_pk_fma_f32 v[6:7], v[142:143], v[30:31], v[6:7] op_sel:[0,0,1] op_sel_hi:[1,1,0] neg_lo:[0,0,1] neg_hi:[0,0,1]
	v_pk_add_f32 v[30:31], v[34:35], v[36:37]
	v_pk_add_f32 v[28:29], v[28:29], v[50:51]
	v_pk_fma_f32 v[16:17], v[30:31], 0.5, v[16:17] op_sel_hi:[1,0,1] neg_lo:[1,0,0] neg_hi:[1,0,0]
	v_pk_add_f32 v[30:31], v[34:35], v[36:37] neg_lo:[0,1] neg_hi:[0,1]
	v_pk_add_f32 v[4:5], v[4:5], v[46:47]
	v_pk_mul_f32 v[30:31], v[30:31], s[0:1] op_sel_hi:[1,0]
	ds_write2_b64 v14, v[28:29], v[4:5] offset0:50 offset1:101
	v_pk_add_f32 v[34:35], v[16:17], v[30:31] op_sel:[0,1] op_sel_hi:[1,0] neg_lo:[0,1] neg_hi:[0,1]
	v_pk_add_f32 v[16:17], v[16:17], v[30:31] op_sel:[0,1] op_sel_hi:[1,0]
	v_mov_b32_e32 v31, v35
	v_mov_b32_e32 v30, v16
	;; [unrolled: 1-line block ×3, first 2 shown]
	v_pk_add_f32 v[16:17], v[40:41], v[42:43]
	v_pk_add_f32 v[4:5], v[52:53], v[46:47]
	v_pk_fma_f32 v[16:17], v[16:17], 0.5, v[18:19] op_sel_hi:[1,0,1] neg_lo:[1,0,0] neg_hi:[1,0,0]
	v_pk_add_f32 v[18:19], v[40:41], v[42:43] neg_lo:[0,1] neg_hi:[0,1]
	v_pk_fma_f32 v[4:5], v[4:5], 0.5, v[22:23] op_sel_hi:[1,0,1] neg_lo:[1,0,0] neg_hi:[1,0,0]
	v_pk_mul_f32 v[18:19], v[18:19], s[0:1] op_sel_hi:[1,0]
	v_mov_b32_e32 v55, v7
	v_pk_add_f32 v[36:37], v[16:17], v[18:19] op_sel:[0,1] op_sel_hi:[1,0] neg_lo:[0,1] neg_hi:[0,1]
	v_pk_add_f32 v[16:17], v[16:17], v[18:19] op_sel:[0,1] op_sel_hi:[1,0]
	v_mov_b32_e32 v19, v37
	v_mov_b32_e32 v18, v16
	ds_write2_b64 v11, v[30:31], v[18:19] offset0:150 offset1:201
	v_mov_b32_e32 v37, v17
	v_pk_add_f32 v[16:17], v[56:57], v[60:61]
	v_pk_add_f32 v[18:19], v[56:57], v[60:61] neg_lo:[0,1] neg_hi:[0,1]
	v_pk_fma_f32 v[16:17], v[16:17], 0.5, v[24:25] op_sel_hi:[1,0,1] neg_lo:[1,0,0] neg_hi:[1,0,0]
	v_pk_mul_f32 v[18:19], v[18:19], s[0:1] op_sel_hi:[1,0]
	v_pk_add_f32 v[6:7], v[2:3], v[68:69]
	v_pk_add_f32 v[24:25], v[16:17], v[18:19] op_sel:[0,1] op_sel_hi:[1,0] neg_lo:[0,1] neg_hi:[0,1]
	v_pk_add_f32 v[16:17], v[16:17], v[18:19] op_sel:[0,1] op_sel_hi:[1,0]
	v_mov_b32_e32 v18, v24
	v_mov_b32_e32 v19, v17
	ds_write2_b64 v13, v[38:39], v[18:19] offset0:100 offset1:151
	v_mov_b32_e32 v17, v25
	v_pk_add_f32 v[18:19], v[62:63], v[64:65]
	v_pk_add_f32 v[24:25], v[62:63], v[64:65] neg_lo:[0,1] neg_hi:[0,1]
	v_pk_fma_f32 v[18:19], v[18:19], 0.5, v[26:27] op_sel_hi:[1,0,1] neg_lo:[1,0,0] neg_hi:[1,0,0]
	v_pk_mul_f32 v[24:25], v[24:25], s[0:1] op_sel_hi:[1,0]
	v_pk_add_f32 v[6:7], v[6:7], v[54:55]
	v_pk_add_f32 v[26:27], v[18:19], v[24:25] op_sel:[0,1] op_sel_hi:[1,0] neg_lo:[0,1] neg_hi:[0,1]
	v_pk_add_f32 v[18:19], v[18:19], v[24:25] op_sel:[0,1] op_sel_hi:[1,0]
	v_mov_b32_e32 v24, v26
	v_mov_b32_e32 v25, v19
	;; [unrolled: 1-line block ×3, first 2 shown]
	ds_write2_b64 v10, v[16:17], v[18:19] offset0:98 offset1:149
	v_pk_add_f32 v[16:17], v[44:45], v[50:51]
	v_pk_add_f32 v[18:19], v[44:45], v[50:51] neg_lo:[0,1] neg_hi:[0,1]
	v_pk_fma_f32 v[16:17], v[16:17], 0.5, v[20:21] op_sel_hi:[1,0,1] neg_lo:[1,0,0] neg_hi:[1,0,0]
	v_pk_mul_f32 v[18:19], v[18:19], s[0:1] op_sel_hi:[1,0]
	ds_write2_b64 v15, v[36:37], v[48:49] offset0:126 offset1:177
	v_pk_add_f32 v[20:21], v[16:17], v[18:19] op_sel:[0,1] op_sel_hi:[1,0] neg_lo:[0,1] neg_hi:[0,1]
	v_pk_add_f32 v[16:17], v[16:17], v[18:19] op_sel:[0,1] op_sel_hi:[1,0]
	v_mov_b32_e32 v18, v20
	v_mov_b32_e32 v19, v17
	ds_write2_b64 v13, v[24:25], v[18:19] offset0:202 offset1:253
	v_pk_add_f32 v[18:19], v[52:53], v[46:47] neg_lo:[0,1] neg_hi:[0,1]
	v_mov_b32_e32 v17, v21
	v_pk_mul_f32 v[18:19], v[18:19], s[0:1] op_sel_hi:[1,0]
	s_nop 0
	v_pk_add_f32 v[20:21], v[4:5], v[18:19] op_sel:[0,1] op_sel_hi:[1,0] neg_lo:[0,1] neg_hi:[0,1]
	v_pk_add_f32 v[4:5], v[4:5], v[18:19] op_sel:[0,1] op_sel_hi:[1,0]
	v_mov_b32_e32 v18, v20
	v_mov_b32_e32 v19, v5
	;; [unrolled: 1-line block ×3, first 2 shown]
	ds_write2_b64 v10, v[16:17], v[4:5] offset0:200 offset1:251
	ds_write2_b64 v14, v[6:7], v[34:35] offset0:152 offset1:203
	v_pk_add_f32 v[4:5], v[68:69], v[54:55]
	v_accvgpr_read_b32 v16, a38
	v_pk_fma_f32 v[2:3], v[4:5], 0.5, v[2:3] op_sel_hi:[1,0,1] neg_lo:[1,0,0] neg_hi:[1,0,0]
	v_pk_add_f32 v[4:5], v[68:69], v[54:55] neg_lo:[0,1] neg_hi:[0,1]
	v_accvgpr_read_b32 v17, a39
	v_pk_mul_f32 v[4:5], v[4:5], s[0:1] op_sel_hi:[1,0]
	s_nop 0
	v_pk_add_f32 v[6:7], v[2:3], v[4:5] op_sel:[0,1] op_sel_hi:[1,0] neg_lo:[0,1] neg_hi:[0,1]
	v_pk_add_f32 v[2:3], v[2:3], v[4:5] op_sel:[0,1] op_sel_hi:[1,0]
	v_mov_b32_e32 v4, v6
	v_mov_b32_e32 v5, v3
	;; [unrolled: 1-line block ×3, first 2 shown]
	ds_write2_b64 v11, v[18:19], v[4:5] offset0:48 offset1:99
	ds_write_b64 v168, v[2:3] offset:10608
	s_waitcnt lgkmcnt(0)
	; wave barrier
	s_waitcnt lgkmcnt(0)
	ds_read2_b64 v[2:5], v168 offset1:81
	v_mad_u64_u32 v[6:7], s[0:1], s7, v70, v[32:33]
	v_mov_b32_e32 v1, v6
	s_mov_b32 s0, 0xdee863a6
	s_waitcnt lgkmcnt(0)
	v_mul_f32_e32 v6, v17, v3
	v_fmac_f32_e32 v6, v16, v2
	v_mul_f32_e32 v2, v17, v2
	v_fma_f32 v2, v16, v3, -v2
	v_cvt_f64_f32_e32 v[6:7], v6
	s_mov_b32 s1, 0x3f47cbf1
	v_cvt_f64_f32_e32 v[2:3], v2
	v_accvgpr_read_b32 v19, a202            ;  Reload Reuse
	v_mul_f64 v[6:7], v[6:7], s[0:1]
	v_mul_f64 v[2:3], v[2:3], s[0:1]
	v_accvgpr_read_b32 v18, a204            ;  Reload Reuse
	v_cvt_f32_f64_e32 v6, v[6:7]
	v_cvt_f32_f64_e32 v7, v[2:3]
	v_mad_u64_u32 v[2:3], s[2:3], s4, v18, 0
	v_mov_b32_e32 v16, v3
	v_mad_u64_u32 v[16:17], s[2:3], s5, v18, v[16:17]
	v_mov_b32_e32 v3, v16
	v_lshl_add_u64 v[0:1], v[0:1], 3, v[8:9]
	v_lshl_add_u64 v[8:9], v[2:3], 3, v[0:1]
	v_accvgpr_read_b32 v2, a36
	v_accvgpr_read_b32 v3, a37
	v_mul_f32_e32 v0, v3, v5
	v_fmac_f32_e32 v0, v2, v4
	v_cvt_f64_f32_e32 v[0:1], v0
	v_mul_f64 v[0:1], v[0:1], s[0:1]
	global_store_dwordx2 v[8:9], v[6:7], off
	v_cvt_f32_f64_e32 v6, v[0:1]
	v_mul_f32_e32 v0, v3, v4
	v_fma_f32 v0, v2, v5, -v0
	v_cvt_f64_f32_e32 v[0:1], v0
	v_mul_f64 v[0:1], v[0:1], s[0:1]
	v_cvt_f32_f64_e32 v7, v[0:1]
	s_mul_i32 s2, s5, 0x51
	s_mul_hi_u32 s3, s4, 0x51
	ds_read2_b64 v[0:3], v168 offset0:162 offset1:243
	s_add_i32 s3, s3, s2
	s_mul_i32 s2, s4, 0x51
	s_lshl_b64 s[2:3], s[2:3], 3
	v_lshl_add_u64 v[4:5], v[8:9], 0, s[2:3]
	v_accvgpr_read_b32 v8, a34
	v_accvgpr_read_b32 v9, a35
	global_store_dwordx2 v[4:5], v[6:7], off
	s_waitcnt lgkmcnt(0)
	v_mul_f32_e32 v6, v9, v1
	v_fmac_f32_e32 v6, v8, v0
	v_mul_f32_e32 v0, v9, v0
	v_fma_f32 v0, v8, v1, -v0
	v_cvt_f64_f32_e32 v[6:7], v6
	v_cvt_f64_f32_e32 v[0:1], v0
	v_accvgpr_read_b32 v8, a32
	v_mul_f64 v[6:7], v[6:7], s[0:1]
	v_mul_f64 v[0:1], v[0:1], s[0:1]
	v_accvgpr_read_b32 v9, a33
	v_cvt_f32_f64_e32 v6, v[6:7]
	v_cvt_f32_f64_e32 v7, v[0:1]
	v_mul_f32_e32 v0, v9, v3
	v_fmac_f32_e32 v0, v8, v2
	v_cvt_f64_f32_e32 v[0:1], v0
	v_lshl_add_u64 v[4:5], v[4:5], 0, s[2:3]
	v_mul_f64 v[0:1], v[0:1], s[0:1]
	global_store_dwordx2 v[4:5], v[6:7], off
	v_cvt_f32_f64_e32 v6, v[0:1]
	v_mul_f32_e32 v0, v9, v2
	v_fma_f32 v0, v8, v3, -v0
	v_cvt_f64_f32_e32 v[8:9], v0
	ds_read2_b64 v[0:3], v14 offset0:68 offset1:149
	v_mul_f64 v[8:9], v[8:9], s[0:1]
	v_cvt_f32_f64_e32 v7, v[8:9]
	v_accvgpr_read_b32 v8, a26
	v_lshl_add_u64 v[4:5], v[4:5], 0, s[2:3]
	v_accvgpr_read_b32 v9, a27
	global_store_dwordx2 v[4:5], v[6:7], off
	s_waitcnt lgkmcnt(0)
	v_mul_f32_e32 v6, v9, v1
	v_fmac_f32_e32 v6, v8, v0
	v_mul_f32_e32 v0, v9, v0
	v_fma_f32 v0, v8, v1, -v0
	v_cvt_f64_f32_e32 v[6:7], v6
	v_cvt_f64_f32_e32 v[0:1], v0
	v_accvgpr_read_b32 v8, a30
	v_mul_f64 v[6:7], v[6:7], s[0:1]
	v_mul_f64 v[0:1], v[0:1], s[0:1]
	v_accvgpr_read_b32 v9, a31
	v_cvt_f32_f64_e32 v6, v[6:7]
	v_cvt_f32_f64_e32 v7, v[0:1]
	v_mul_f32_e32 v0, v9, v3
	v_fmac_f32_e32 v0, v8, v2
	v_cvt_f64_f32_e32 v[0:1], v0
	v_lshl_add_u64 v[4:5], v[4:5], 0, s[2:3]
	v_mul_f64 v[0:1], v[0:1], s[0:1]
	global_store_dwordx2 v[4:5], v[6:7], off
	v_cvt_f32_f64_e32 v6, v[0:1]
	v_mul_f32_e32 v0, v9, v2
	v_fma_f32 v0, v8, v3, -v0
	v_cvt_f64_f32_e32 v[8:9], v0
	ds_read2_b64 v[0:3], v15 offset0:102 offset1:183
	v_mul_f64 v[8:9], v[8:9], s[0:1]
	v_cvt_f32_f64_e32 v7, v[8:9]
	v_accvgpr_read_b32 v8, a22
	v_lshl_add_u64 v[4:5], v[4:5], 0, s[2:3]
	;; [unrolled: 30-line block ×5, first 2 shown]
	v_accvgpr_read_b32 v9, a9
	global_store_dwordx2 v[4:5], v[6:7], off
	s_waitcnt lgkmcnt(0)
	v_mul_f32_e32 v6, v9, v1
	v_fmac_f32_e32 v6, v8, v0
	v_mul_f32_e32 v0, v9, v0
	v_fma_f32 v0, v8, v1, -v0
	v_cvt_f64_f32_e32 v[6:7], v6
	v_cvt_f64_f32_e32 v[0:1], v0
	v_accvgpr_read_b32 v8, a10
	v_mul_f64 v[6:7], v[6:7], s[0:1]
	v_mul_f64 v[0:1], v[0:1], s[0:1]
	v_accvgpr_read_b32 v9, a11
	v_cvt_f32_f64_e32 v6, v[6:7]
	v_cvt_f32_f64_e32 v7, v[0:1]
	v_mul_f32_e32 v0, v9, v3
	v_fmac_f32_e32 v0, v8, v2
	v_cvt_f64_f32_e32 v[0:1], v0
	v_lshl_add_u64 v[4:5], v[4:5], 0, s[2:3]
	v_mul_f64 v[0:1], v[0:1], s[0:1]
	global_store_dwordx2 v[4:5], v[6:7], off
	v_cvt_f32_f64_e32 v6, v[0:1]
	v_mul_f32_e32 v0, v9, v2
	v_fma_f32 v0, v8, v3, -v0
	v_cvt_f64_f32_e32 v[8:9], v0
	ds_read2_b64 v[0:3], v10 offset0:110 offset1:191
	v_mul_f64 v[8:9], v[8:9], s[0:1]
	v_cvt_f32_f64_e32 v7, v[8:9]
	v_lshl_add_u64 v[4:5], v[4:5], 0, s[2:3]
	v_accvgpr_read_b32 v9, a186             ;  Reload Reuse
	global_store_dwordx2 v[4:5], v[6:7], off
	v_accvgpr_read_b32 v8, a188             ;  Reload Reuse
	s_waitcnt lgkmcnt(0)
	v_mul_f32_e32 v6, v9, v1
	v_fmac_f32_e32 v6, v8, v0
	v_mul_f32_e32 v0, v9, v0
	v_fma_f32 v0, v8, v1, -v0
	v_cvt_f64_f32_e32 v[6:7], v6
	v_cvt_f64_f32_e32 v[0:1], v0
	v_mul_f64 v[6:7], v[6:7], s[0:1]
	v_mul_f64 v[0:1], v[0:1], s[0:1]
	v_cvt_f32_f64_e32 v6, v[6:7]
	v_cvt_f32_f64_e32 v7, v[0:1]
	v_lshl_add_u64 v[0:1], v[4:5], 0, s[2:3]
	global_store_dwordx2 v[0:1], v[6:7], off
	v_accvgpr_read_b32 v7, a192             ;  Reload Reuse
	v_accvgpr_read_b32 v6, a196             ;  Reload Reuse
	v_mul_f32_e32 v4, v7, v3
	v_fmac_f32_e32 v4, v6, v2
	v_mul_f32_e32 v2, v7, v2
	v_fma_f32 v2, v6, v3, -v2
	ds_read_b64 v[6:7], v168 offset:10368
	v_cvt_f64_f32_e32 v[4:5], v4
	v_cvt_f64_f32_e32 v[2:3], v2
	v_mul_f64 v[4:5], v[4:5], s[0:1]
	v_mul_f64 v[2:3], v[2:3], s[0:1]
	v_cvt_f32_f64_e32 v4, v[4:5]
	v_cvt_f32_f64_e32 v5, v[2:3]
	v_lshl_add_u64 v[0:1], v[0:1], 0, s[2:3]
	global_store_dwordx2 v[0:1], v[4:5], off
	v_accvgpr_read_b32 v5, a198             ;  Reload Reuse
	v_accvgpr_read_b32 v4, a200             ;  Reload Reuse
	s_waitcnt lgkmcnt(0)
	v_mul_f32_e32 v2, v5, v7
	v_fmac_f32_e32 v2, v4, v6
	v_cvt_f64_f32_e32 v[2:3], v2
	v_mul_f64 v[2:3], v[2:3], s[0:1]
	v_cvt_f32_f64_e32 v2, v[2:3]
	v_mul_f32_e32 v3, v5, v6
	v_fma_f32 v3, v4, v7, -v3
	v_cvt_f64_f32_e32 v[4:5], v3
	v_mul_f64 v[4:5], v[4:5], s[0:1]
	s_movk_i32 s7, 0x1000
	v_cvt_f32_f64_e32 v3, v[4:5]
	v_lshl_add_u64 v[0:1], v[0:1], 0, s[2:3]
	global_store_dwordx2 v[0:1], v[2:3], off
	s_and_b64 exec, exec, vcc
	s_cbranch_execz .LBB0_15
; %bb.14:
	v_accvgpr_read_b32 v17, a182            ;  Reload Reuse
	v_accvgpr_read_b32 v16, a184            ;  Reload Reuse
	global_load_dwordx2 v[6:7], v[16:17], off offset:408
	ds_read2_b64 v[2:5], v168 offset0:51 offset1:132
	v_mov_b32_e32 v8, 0xffffd918
	v_mad_u64_u32 v[0:1], s[8:9], s4, v8, v[0:1]
	s_mulk_i32 s5, 0xd918
	s_sub_i32 s4, s5, s4
	v_add_u32_e32 v1, s4, v1
	s_waitcnt vmcnt(0) lgkmcnt(0)
	v_mul_f32_e32 v8, v3, v7
	v_mul_f32_e32 v7, v2, v7
	v_fmac_f32_e32 v8, v2, v6
	v_fma_f32 v6, v6, v3, -v7
	v_cvt_f64_f32_e32 v[2:3], v8
	v_cvt_f64_f32_e32 v[6:7], v6
	v_mul_f64 v[2:3], v[2:3], s[0:1]
	v_mul_f64 v[6:7], v[6:7], s[0:1]
	v_cvt_f32_f64_e32 v2, v[2:3]
	v_cvt_f32_f64_e32 v3, v[6:7]
	global_store_dwordx2 v[0:1], v[2:3], off
	global_load_dwordx2 v[2:3], v[16:17], off offset:1056
	v_lshl_add_u64 v[6:7], v[0:1], 0, s[2:3]
	s_waitcnt vmcnt(0)
	v_mul_f32_e32 v0, v5, v3
	v_mul_f32_e32 v1, v4, v3
	v_fmac_f32_e32 v0, v4, v2
	v_fma_f32 v2, v2, v5, -v1
	v_cvt_f64_f32_e32 v[0:1], v0
	v_cvt_f64_f32_e32 v[2:3], v2
	v_mul_f64 v[0:1], v[0:1], s[0:1]
	v_mul_f64 v[2:3], v[2:3], s[0:1]
	v_cvt_f32_f64_e32 v0, v[0:1]
	v_cvt_f32_f64_e32 v1, v[2:3]
	global_store_dwordx2 v[6:7], v[0:1], off
	global_load_dwordx2 v[4:5], v[16:17], off offset:1704
	v_add_u32_e32 v0, 0x400, v168
	ds_read2_b64 v[0:3], v0 offset0:85 offset1:166
	v_lshl_add_u64 v[6:7], v[6:7], 0, s[2:3]
	s_waitcnt vmcnt(0) lgkmcnt(0)
	v_mul_f32_e32 v8, v1, v5
	v_mul_f32_e32 v5, v0, v5
	v_fmac_f32_e32 v8, v0, v4
	v_fma_f32 v4, v4, v1, -v5
	v_cvt_f64_f32_e32 v[0:1], v8
	v_cvt_f64_f32_e32 v[4:5], v4
	v_mul_f64 v[0:1], v[0:1], s[0:1]
	v_mul_f64 v[4:5], v[4:5], s[0:1]
	v_cvt_f32_f64_e32 v0, v[0:1]
	v_cvt_f32_f64_e32 v1, v[4:5]
	global_store_dwordx2 v[6:7], v[0:1], off
	global_load_dwordx2 v[0:1], v[16:17], off offset:2352
	v_lshl_add_u64 v[4:5], v[6:7], 0, s[2:3]
	s_waitcnt vmcnt(0)
	v_mul_f32_e32 v6, v3, v1
	v_mul_f32_e32 v1, v2, v1
	v_fmac_f32_e32 v6, v2, v0
	v_fma_f32 v2, v0, v3, -v1
	v_cvt_f64_f32_e32 v[0:1], v6
	v_cvt_f64_f32_e32 v[2:3], v2
	v_mul_f64 v[0:1], v[0:1], s[0:1]
	v_mul_f64 v[2:3], v[2:3], s[0:1]
	v_cvt_f32_f64_e32 v0, v[0:1]
	v_cvt_f32_f64_e32 v1, v[2:3]
	global_store_dwordx2 v[4:5], v[0:1], off
	global_load_dwordx2 v[6:7], v[16:17], off offset:3000
	ds_read2_b64 v[0:3], v14 offset0:119 offset1:200
	v_lshl_add_u64 v[4:5], v[4:5], 0, s[2:3]
	s_waitcnt vmcnt(0) lgkmcnt(0)
	v_mul_f32_e32 v8, v1, v7
	v_mul_f32_e32 v7, v0, v7
	v_fmac_f32_e32 v8, v0, v6
	v_fma_f32 v6, v6, v1, -v7
	v_cvt_f64_f32_e32 v[0:1], v8
	v_cvt_f64_f32_e32 v[6:7], v6
	v_mul_f64 v[0:1], v[0:1], s[0:1]
	v_mul_f64 v[6:7], v[6:7], s[0:1]
	v_cvt_f32_f64_e32 v0, v[0:1]
	v_cvt_f32_f64_e32 v1, v[6:7]
	global_store_dwordx2 v[4:5], v[0:1], off
	global_load_dwordx2 v[0:1], v[16:17], off offset:3648
	v_add_co_u32_e32 v6, vcc, s7, v16
	v_lshl_add_u64 v[4:5], v[4:5], 0, s[2:3]
	s_nop 0
	v_addc_co_u32_e32 v7, vcc, 0, v17, vcc
	s_waitcnt vmcnt(0)
	v_mul_f32_e32 v8, v3, v1
	v_mul_f32_e32 v1, v2, v1
	v_fmac_f32_e32 v8, v2, v0
	v_fma_f32 v2, v0, v3, -v1
	v_cvt_f64_f32_e32 v[0:1], v8
	v_cvt_f64_f32_e32 v[2:3], v2
	v_mul_f64 v[0:1], v[0:1], s[0:1]
	v_mul_f64 v[2:3], v[2:3], s[0:1]
	v_cvt_f32_f64_e32 v0, v[0:1]
	v_cvt_f32_f64_e32 v1, v[2:3]
	global_store_dwordx2 v[4:5], v[0:1], off
	global_load_dwordx2 v[8:9], v[6:7], off offset:200
	ds_read2_b64 v[0:3], v13 offset0:25 offset1:106
	v_lshl_add_u64 v[4:5], v[4:5], 0, s[2:3]
	s_waitcnt vmcnt(0) lgkmcnt(0)
	v_mul_f32_e32 v13, v1, v9
	v_mul_f32_e32 v9, v0, v9
	v_fmac_f32_e32 v13, v0, v8
	v_fma_f32 v8, v8, v1, -v9
	v_cvt_f64_f32_e32 v[0:1], v13
	v_cvt_f64_f32_e32 v[8:9], v8
	v_mul_f64 v[0:1], v[0:1], s[0:1]
	v_mul_f64 v[8:9], v[8:9], s[0:1]
	v_cvt_f32_f64_e32 v0, v[0:1]
	v_cvt_f32_f64_e32 v1, v[8:9]
	global_store_dwordx2 v[4:5], v[0:1], off
	global_load_dwordx2 v[0:1], v[6:7], off offset:848
	v_lshl_add_u64 v[4:5], v[4:5], 0, s[2:3]
	s_waitcnt vmcnt(0)
	v_mul_f32_e32 v8, v3, v1
	v_mul_f32_e32 v1, v2, v1
	v_fmac_f32_e32 v8, v2, v0
	v_fma_f32 v2, v0, v3, -v1
	v_cvt_f64_f32_e32 v[0:1], v8
	v_cvt_f64_f32_e32 v[2:3], v2
	v_mul_f64 v[0:1], v[0:1], s[0:1]
	v_mul_f64 v[2:3], v[2:3], s[0:1]
	v_cvt_f32_f64_e32 v0, v[0:1]
	v_cvt_f32_f64_e32 v1, v[2:3]
	global_store_dwordx2 v[4:5], v[0:1], off
	global_load_dwordx2 v[8:9], v[6:7], off offset:1496
	v_add_u32_e32 v0, 0x1400, v168
	ds_read2_b64 v[0:3], v0 offset0:59 offset1:140
	v_lshl_add_u64 v[4:5], v[4:5], 0, s[2:3]
	s_waitcnt vmcnt(0) lgkmcnt(0)
	v_mul_f32_e32 v13, v1, v9
	v_mul_f32_e32 v9, v0, v9
	v_fmac_f32_e32 v13, v0, v8
	v_fma_f32 v8, v8, v1, -v9
	v_cvt_f64_f32_e32 v[0:1], v13
	v_cvt_f64_f32_e32 v[8:9], v8
	v_mul_f64 v[0:1], v[0:1], s[0:1]
	v_mul_f64 v[8:9], v[8:9], s[0:1]
	v_cvt_f32_f64_e32 v0, v[0:1]
	v_cvt_f32_f64_e32 v1, v[8:9]
	global_store_dwordx2 v[4:5], v[0:1], off
	global_load_dwordx2 v[0:1], v[6:7], off offset:2144
	v_lshl_add_u64 v[4:5], v[4:5], 0, s[2:3]
	s_waitcnt vmcnt(0)
	v_mul_f32_e32 v8, v3, v1
	v_mul_f32_e32 v1, v2, v1
	v_fmac_f32_e32 v8, v2, v0
	v_fma_f32 v2, v0, v3, -v1
	v_cvt_f64_f32_e32 v[0:1], v8
	v_cvt_f64_f32_e32 v[2:3], v2
	v_mul_f64 v[0:1], v[0:1], s[0:1]
	v_mul_f64 v[2:3], v[2:3], s[0:1]
	v_cvt_f32_f64_e32 v0, v[0:1]
	v_cvt_f32_f64_e32 v1, v[2:3]
	global_store_dwordx2 v[4:5], v[0:1], off
	global_load_dwordx2 v[8:9], v[6:7], off offset:2792
	ds_read2_b64 v[0:3], v11 offset0:93 offset1:174
	v_lshl_add_u64 v[4:5], v[4:5], 0, s[2:3]
	s_waitcnt vmcnt(0) lgkmcnt(0)
	v_mul_f32_e32 v11, v1, v9
	v_mul_f32_e32 v9, v0, v9
	v_fmac_f32_e32 v11, v0, v8
	v_fma_f32 v8, v8, v1, -v9
	v_cvt_f64_f32_e32 v[0:1], v11
	v_cvt_f64_f32_e32 v[8:9], v8
	v_mul_f64 v[0:1], v[0:1], s[0:1]
	v_mul_f64 v[8:9], v[8:9], s[0:1]
	v_cvt_f32_f64_e32 v0, v[0:1]
	v_cvt_f32_f64_e32 v1, v[8:9]
	global_store_dwordx2 v[4:5], v[0:1], off
	global_load_dwordx2 v[0:1], v[6:7], off offset:3440
	v_lshl_add_u64 v[4:5], v[4:5], 0, s[2:3]
	s_waitcnt vmcnt(0)
	v_mul_f32_e32 v8, v3, v1
	v_mul_f32_e32 v1, v2, v1
	v_fmac_f32_e32 v8, v2, v0
	v_fma_f32 v2, v0, v3, -v1
	v_cvt_f64_f32_e32 v[0:1], v8
	v_cvt_f64_f32_e32 v[2:3], v2
	v_mul_f64 v[0:1], v[0:1], s[0:1]
	v_mul_f64 v[2:3], v[2:3], s[0:1]
	v_cvt_f32_f64_e32 v0, v[0:1]
	v_cvt_f32_f64_e32 v1, v[2:3]
	global_store_dwordx2 v[4:5], v[0:1], off
	global_load_dwordx2 v[6:7], v[6:7], off offset:4088
	ds_read2_b64 v[0:3], v12 offset0:127 offset1:208
	v_add_co_u32_e32 v8, vcc, s6, v16
	v_lshl_add_u64 v[4:5], v[4:5], 0, s[2:3]
	s_nop 0
	v_addc_co_u32_e32 v9, vcc, 0, v17, vcc
	s_waitcnt vmcnt(0) lgkmcnt(0)
	v_mul_f32_e32 v11, v1, v7
	v_mul_f32_e32 v7, v0, v7
	v_fmac_f32_e32 v11, v0, v6
	v_fma_f32 v6, v6, v1, -v7
	v_cvt_f64_f32_e32 v[0:1], v11
	v_cvt_f64_f32_e32 v[6:7], v6
	v_mul_f64 v[0:1], v[0:1], s[0:1]
	v_mul_f64 v[6:7], v[6:7], s[0:1]
	v_cvt_f32_f64_e32 v0, v[0:1]
	v_cvt_f32_f64_e32 v1, v[6:7]
	global_store_dwordx2 v[4:5], v[0:1], off
	global_load_dwordx2 v[0:1], v[8:9], off offset:640
	v_lshl_add_u64 v[4:5], v[4:5], 0, s[2:3]
	s_waitcnt vmcnt(0)
	v_mul_f32_e32 v6, v3, v1
	v_mul_f32_e32 v1, v2, v1
	v_fmac_f32_e32 v6, v2, v0
	v_fma_f32 v2, v0, v3, -v1
	v_cvt_f64_f32_e32 v[0:1], v6
	v_cvt_f64_f32_e32 v[2:3], v2
	v_mul_f64 v[0:1], v[0:1], s[0:1]
	v_mul_f64 v[2:3], v[2:3], s[0:1]
	v_cvt_f32_f64_e32 v0, v[0:1]
	v_cvt_f32_f64_e32 v1, v[2:3]
	global_store_dwordx2 v[4:5], v[0:1], off
	global_load_dwordx2 v[6:7], v[8:9], off offset:1288
	ds_read2_b64 v[0:3], v10 offset0:161 offset1:242
	v_lshl_add_u64 v[4:5], v[4:5], 0, s[2:3]
	s_waitcnt vmcnt(0) lgkmcnt(0)
	v_mul_f32_e32 v10, v1, v7
	v_mul_f32_e32 v7, v0, v7
	v_fmac_f32_e32 v10, v0, v6
	v_fma_f32 v6, v6, v1, -v7
	v_cvt_f64_f32_e32 v[0:1], v10
	v_cvt_f64_f32_e32 v[6:7], v6
	v_mul_f64 v[0:1], v[0:1], s[0:1]
	v_mul_f64 v[6:7], v[6:7], s[0:1]
	v_cvt_f32_f64_e32 v0, v[0:1]
	v_cvt_f32_f64_e32 v1, v[6:7]
	global_store_dwordx2 v[4:5], v[0:1], off
	global_load_dwordx2 v[0:1], v[8:9], off offset:1936
	v_lshl_add_u64 v[4:5], v[4:5], 0, s[2:3]
	s_waitcnt vmcnt(0)
	v_mul_f32_e32 v6, v3, v1
	v_mul_f32_e32 v1, v2, v1
	v_fmac_f32_e32 v6, v2, v0
	v_fma_f32 v2, v0, v3, -v1
	v_cvt_f64_f32_e32 v[0:1], v6
	v_cvt_f64_f32_e32 v[2:3], v2
	v_mul_f64 v[0:1], v[0:1], s[0:1]
	v_mul_f64 v[2:3], v[2:3], s[0:1]
	v_cvt_f32_f64_e32 v0, v[0:1]
	v_cvt_f32_f64_e32 v1, v[2:3]
	global_store_dwordx2 v[4:5], v[0:1], off
	global_load_dwordx2 v[0:1], v[8:9], off offset:2584
	ds_read_b64 v[2:3], v168 offset:10776
	s_waitcnt vmcnt(0) lgkmcnt(0)
	v_mul_f32_e32 v6, v3, v1
	v_mul_f32_e32 v1, v2, v1
	v_fmac_f32_e32 v6, v2, v0
	v_fma_f32 v2, v0, v3, -v1
	v_cvt_f64_f32_e32 v[0:1], v6
	v_cvt_f64_f32_e32 v[2:3], v2
	v_mul_f64 v[0:1], v[0:1], s[0:1]
	v_mul_f64 v[2:3], v[2:3], s[0:1]
	v_cvt_f32_f64_e32 v0, v[0:1]
	v_cvt_f32_f64_e32 v1, v[2:3]
	v_lshl_add_u64 v[2:3], v[4:5], 0, s[2:3]
	global_store_dwordx2 v[2:3], v[0:1], off
.LBB0_15:
	s_endpgm
	.section	.rodata,"a",@progbits
	.p2align	6, 0x0
	.amdhsa_kernel bluestein_single_fwd_len1377_dim1_sp_op_CI_CI
		.amdhsa_group_segment_fixed_size 11016
		.amdhsa_private_segment_fixed_size 0
		.amdhsa_kernarg_size 104
		.amdhsa_user_sgpr_count 2
		.amdhsa_user_sgpr_dispatch_ptr 0
		.amdhsa_user_sgpr_queue_ptr 0
		.amdhsa_user_sgpr_kernarg_segment_ptr 1
		.amdhsa_user_sgpr_dispatch_id 0
		.amdhsa_user_sgpr_kernarg_preload_length 0
		.amdhsa_user_sgpr_kernarg_preload_offset 0
		.amdhsa_user_sgpr_private_segment_size 0
		.amdhsa_uses_dynamic_stack 0
		.amdhsa_enable_private_segment 0
		.amdhsa_system_sgpr_workgroup_id_x 1
		.amdhsa_system_sgpr_workgroup_id_y 0
		.amdhsa_system_sgpr_workgroup_id_z 0
		.amdhsa_system_sgpr_workgroup_info 0
		.amdhsa_system_vgpr_workitem_id 0
		.amdhsa_next_free_vgpr 512
		.amdhsa_next_free_sgpr 84
		.amdhsa_accum_offset 256
		.amdhsa_reserve_vcc 1
		.amdhsa_float_round_mode_32 0
		.amdhsa_float_round_mode_16_64 0
		.amdhsa_float_denorm_mode_32 3
		.amdhsa_float_denorm_mode_16_64 3
		.amdhsa_dx10_clamp 1
		.amdhsa_ieee_mode 1
		.amdhsa_fp16_overflow 0
		.amdhsa_tg_split 0
		.amdhsa_exception_fp_ieee_invalid_op 0
		.amdhsa_exception_fp_denorm_src 0
		.amdhsa_exception_fp_ieee_div_zero 0
		.amdhsa_exception_fp_ieee_overflow 0
		.amdhsa_exception_fp_ieee_underflow 0
		.amdhsa_exception_fp_ieee_inexact 0
		.amdhsa_exception_int_div_zero 0
	.end_amdhsa_kernel
	.text
.Lfunc_end0:
	.size	bluestein_single_fwd_len1377_dim1_sp_op_CI_CI, .Lfunc_end0-bluestein_single_fwd_len1377_dim1_sp_op_CI_CI
                                        ; -- End function
	.section	.AMDGPU.csdata,"",@progbits
; Kernel info:
; codeLenInByte = 44092
; NumSgprs: 90
; NumVgprs: 256
; NumAgprs: 256
; TotalNumVgprs: 512
; ScratchSize: 0
; MemoryBound: 0
; FloatMode: 240
; IeeeMode: 1
; LDSByteSize: 11016 bytes/workgroup (compile time only)
; SGPRBlocks: 11
; VGPRBlocks: 63
; NumSGPRsForWavesPerEU: 90
; NumVGPRsForWavesPerEU: 512
; AccumOffset: 256
; Occupancy: 1
; WaveLimiterHint : 1
; COMPUTE_PGM_RSRC2:SCRATCH_EN: 0
; COMPUTE_PGM_RSRC2:USER_SGPR: 2
; COMPUTE_PGM_RSRC2:TRAP_HANDLER: 0
; COMPUTE_PGM_RSRC2:TGID_X_EN: 1
; COMPUTE_PGM_RSRC2:TGID_Y_EN: 0
; COMPUTE_PGM_RSRC2:TGID_Z_EN: 0
; COMPUTE_PGM_RSRC2:TIDIG_COMP_CNT: 0
; COMPUTE_PGM_RSRC3_GFX90A:ACCUM_OFFSET: 63
; COMPUTE_PGM_RSRC3_GFX90A:TG_SPLIT: 0
	.text
	.p2alignl 6, 3212836864
	.fill 256, 4, 3212836864
	.type	__hip_cuid_c144968f5f49a144,@object ; @__hip_cuid_c144968f5f49a144
	.section	.bss,"aw",@nobits
	.globl	__hip_cuid_c144968f5f49a144
__hip_cuid_c144968f5f49a144:
	.byte	0                               ; 0x0
	.size	__hip_cuid_c144968f5f49a144, 1

	.ident	"AMD clang version 19.0.0git (https://github.com/RadeonOpenCompute/llvm-project roc-6.4.0 25133 c7fe45cf4b819c5991fe208aaa96edf142730f1d)"
	.section	".note.GNU-stack","",@progbits
	.addrsig
	.addrsig_sym __hip_cuid_c144968f5f49a144
	.amdgpu_metadata
---
amdhsa.kernels:
  - .agpr_count:     256
    .args:
      - .actual_access:  read_only
        .address_space:  global
        .offset:         0
        .size:           8
        .value_kind:     global_buffer
      - .actual_access:  read_only
        .address_space:  global
        .offset:         8
        .size:           8
        .value_kind:     global_buffer
      - .actual_access:  read_only
        .address_space:  global
        .offset:         16
        .size:           8
        .value_kind:     global_buffer
      - .actual_access:  read_only
        .address_space:  global
        .offset:         24
        .size:           8
        .value_kind:     global_buffer
      - .actual_access:  read_only
        .address_space:  global
        .offset:         32
        .size:           8
        .value_kind:     global_buffer
      - .offset:         40
        .size:           8
        .value_kind:     by_value
      - .address_space:  global
        .offset:         48
        .size:           8
        .value_kind:     global_buffer
      - .address_space:  global
        .offset:         56
        .size:           8
        .value_kind:     global_buffer
      - .address_space:  global
        .offset:         64
        .size:           8
        .value_kind:     global_buffer
      - .address_space:  global
        .offset:         72
        .size:           8
        .value_kind:     global_buffer
      - .offset:         80
        .size:           4
        .value_kind:     by_value
      - .address_space:  global
        .offset:         88
        .size:           8
        .value_kind:     global_buffer
      - .address_space:  global
        .offset:         96
        .size:           8
        .value_kind:     global_buffer
    .group_segment_fixed_size: 11016
    .kernarg_segment_align: 8
    .kernarg_segment_size: 104
    .language:       OpenCL C
    .language_version:
      - 2
      - 0
    .max_flat_workgroup_size: 51
    .name:           bluestein_single_fwd_len1377_dim1_sp_op_CI_CI
    .private_segment_fixed_size: 0
    .sgpr_count:     90
    .sgpr_spill_count: 0
    .symbol:         bluestein_single_fwd_len1377_dim1_sp_op_CI_CI.kd
    .uniform_work_group_size: 1
    .uses_dynamic_stack: false
    .vgpr_count:     512
    .vgpr_spill_count: 10
    .wavefront_size: 64
amdhsa.target:   amdgcn-amd-amdhsa--gfx950
amdhsa.version:
  - 1
  - 2
...

	.end_amdgpu_metadata
